;; amdgpu-corpus repo=ROCm/rocFFT kind=compiled arch=gfx906 opt=O3
	.text
	.amdgcn_target "amdgcn-amd-amdhsa--gfx906"
	.amdhsa_code_object_version 6
	.protected	bluestein_single_back_len192_dim1_half_op_CI_CI ; -- Begin function bluestein_single_back_len192_dim1_half_op_CI_CI
	.globl	bluestein_single_back_len192_dim1_half_op_CI_CI
	.p2align	8
	.type	bluestein_single_back_len192_dim1_half_op_CI_CI,@function
bluestein_single_back_len192_dim1_half_op_CI_CI: ; @bluestein_single_back_len192_dim1_half_op_CI_CI
; %bb.0:
	s_load_dwordx4 s[16:19], s[4:5], 0x28
	v_lshrrev_b32_e32 v1, 4, v0
	v_lshl_or_b32 v20, s6, 3, v1
	v_mov_b32_e32 v21, 0
	s_waitcnt lgkmcnt(0)
	v_cmp_gt_u64_e32 vcc, s[16:17], v[20:21]
	s_and_saveexec_b64 s[0:1], vcc
	s_cbranch_execz .LBB0_2
; %bb.1:
	s_load_dwordx4 s[8:11], s[4:5], 0x18
	v_and_b32_e32 v35, 15, v0
	v_lshlrev_b32_e32 v38, 2, v35
	v_mov_b32_e32 v29, 0xfffffdc0
	v_mul_u32_u24_e32 v44, 0xc0, v1
	s_waitcnt lgkmcnt(0)
	s_load_dwordx4 s[12:15], s[8:9], 0x0
	v_lshl_or_b32 v25, v44, 2, v38
	v_mov_b32_e32 v47, 24
	s_waitcnt lgkmcnt(0)
	v_mad_u64_u32 v[2:3], s[0:1], s14, v20, 0
	v_mad_u64_u32 v[4:5], s[0:1], s12, v35, 0
	v_mov_b32_e32 v0, v3
	s_load_dwordx4 s[0:3], s[4:5], 0x0
	v_mov_b32_e32 v3, v5
	v_mad_u64_u32 v[5:6], s[6:7], s15, v20, v[0:1]
	v_mad_u64_u32 v[6:7], s[6:7], s13, v35, v[3:4]
	v_mov_b32_e32 v3, v5
	v_lshlrev_b64 v[2:3], 2, v[2:3]
	v_mov_b32_e32 v5, v6
	v_mov_b32_e32 v0, s19
	v_lshlrev_b64 v[4:5], 2, v[4:5]
	v_add_co_u32_e32 v2, vcc, s18, v2
	v_addc_co_u32_e32 v0, vcc, v0, v3, vcc
	v_add_co_u32_e32 v2, vcc, v2, v4
	v_addc_co_u32_e32 v3, vcc, v0, v5, vcc
	global_load_dword v4, v[2:3], off
	s_waitcnt lgkmcnt(0)
	s_add_u32 s6, s0, 0x300
	global_load_dword v37, v38, s[0:1]
	s_addc_u32 s7, s1, 0
	s_lshl_b64 s[14:15], s[12:13], 7
	v_mov_b32_e32 v5, s15
	v_add_co_u32_e32 v2, vcc, s14, v2
	v_addc_co_u32_e32 v3, vcc, v3, v5, vcc
	global_load_dword v6, v[2:3], off
	global_load_dword v36, v38, s[0:1] offset:128
	v_add_co_u32_e32 v2, vcc, s14, v2
	v_addc_co_u32_e32 v3, vcc, v3, v5, vcc
	global_load_dword v7, v[2:3], off
	global_load_dword v34, v38, s[0:1] offset:256
	;; [unrolled: 4-line block ×4, first 2 shown]
	v_add_co_u32_e32 v2, vcc, s14, v2
	v_addc_co_u32_e32 v3, vcc, v3, v5, vcc
	global_load_dword v10, v[2:3], off
	v_mad_u64_u32 v[2:3], s[8:9], s12, v29, v[2:3]
	global_load_dword v31, v38, s[0:1] offset:640
	s_mul_i32 s8, s13, 0xfffffdc0
	s_sub_i32 s8, s8, s12
	v_add_u32_e32 v3, s8, v3
	global_load_dword v11, v[2:3], off
	global_load_dword v30, v38, s[0:1] offset:64
	v_add_co_u32_e32 v2, vcc, s14, v2
	v_addc_co_u32_e32 v3, vcc, v3, v5, vcc
	global_load_dword v12, v[2:3], off
	global_load_dword v28, v38, s[0:1] offset:192
	v_add_co_u32_e32 v0, vcc, s14, v2
	v_addc_co_u32_e32 v1, vcc, v3, v5, vcc
	;; [unrolled: 4-line block ×4, first 2 shown]
	s_load_dwordx4 s[8:11], s[10:11], 0x0
	global_load_dword v14, v[0:1], off
	global_load_dword v23, v38, s[0:1] offset:576
	global_load_dword v22, v38, s[0:1] offset:704
	v_add_co_u32_e32 v0, vcc, s14, v0
	v_addc_co_u32_e32 v1, vcc, v1, v5, vcc
	global_load_dword v0, v[0:1], off
	v_or_b32_e32 v3, v44, v35
	v_lshlrev_b32_e32 v27, 2, v3
	s_waitcnt lgkmcnt(0)
	v_mad_u64_u32 v[18:19], s[12:13], s10, v20, 0
	s_movk_i32 s10, 0x3aee
	s_mov_b32 s12, 0xffff
	s_mov_b32 s13, 0xbaee3aee
	v_mov_b32_e32 v50, s3
	s_load_dwordx2 s[4:5], s[4:5], 0x38
	s_waitcnt vmcnt(23)
	v_lshrrev_b32_e32 v1, 16, v4
	s_waitcnt vmcnt(22)
	v_mul_f16_sdwa v5, v37, v1 dst_sel:DWORD dst_unused:UNUSED_PAD src0_sel:WORD_1 src1_sel:DWORD
	v_mul_f16_sdwa v3, v37, v4 dst_sel:DWORD dst_unused:UNUSED_PAD src0_sel:WORD_1 src1_sel:DWORD
	v_fma_f16 v5, v37, v4, v5
	v_fma_f16 v1, v37, v1, -v3
	v_pack_b32_f16 v1, v5, v1
	ds_write_b32 v27, v1
	s_waitcnt vmcnt(21)
	v_lshrrev_b32_e32 v1, 16, v6
	s_waitcnt vmcnt(20)
	v_mul_f16_sdwa v3, v36, v1 dst_sel:DWORD dst_unused:UNUSED_PAD src0_sel:WORD_1 src1_sel:DWORD
	v_mul_f16_sdwa v4, v36, v6 dst_sel:DWORD dst_unused:UNUSED_PAD src0_sel:WORD_1 src1_sel:DWORD
	v_fma_f16 v3, v36, v6, v3
	v_fma_f16 v1, v36, v1, -v4
	v_pack_b32_f16 v1, v3, v1
	ds_write_b32 v27, v1 offset:128
	s_waitcnt vmcnt(19)
	v_lshrrev_b32_e32 v1, 16, v7
	s_waitcnt vmcnt(18)
	v_mul_f16_sdwa v3, v34, v1 dst_sel:DWORD dst_unused:UNUSED_PAD src0_sel:WORD_1 src1_sel:DWORD
	v_mul_f16_sdwa v4, v34, v7 dst_sel:DWORD dst_unused:UNUSED_PAD src0_sel:WORD_1 src1_sel:DWORD
	v_fma_f16 v3, v34, v7, v3
	v_fma_f16 v1, v34, v1, -v4
	v_pack_b32_f16 v1, v3, v1
	ds_write_b32 v25, v1 offset:256
	;; [unrolled: 9-line block ×7, first 2 shown]
	s_waitcnt vmcnt(7)
	v_lshrrev_b32_e32 v1, 16, v2
	s_waitcnt vmcnt(6)
	v_mul_f16_sdwa v3, v26, v1 dst_sel:DWORD dst_unused:UNUSED_PAD src0_sel:WORD_1 src1_sel:DWORD
	v_fma_f16 v3, v26, v2, v3
	v_mul_f16_sdwa v2, v26, v2 dst_sel:DWORD dst_unused:UNUSED_PAD src0_sel:WORD_1 src1_sel:DWORD
	v_fma_f16 v1, v26, v1, -v2
	v_pack_b32_f16 v1, v3, v1
	ds_write_b32 v25, v1 offset:320
	s_waitcnt vmcnt(5)
	v_lshrrev_b32_e32 v1, 16, v13
	s_waitcnt vmcnt(4)
	v_mul_f16_sdwa v2, v24, v1 dst_sel:DWORD dst_unused:UNUSED_PAD src0_sel:WORD_1 src1_sel:DWORD
	v_mul_f16_sdwa v3, v24, v13 dst_sel:DWORD dst_unused:UNUSED_PAD src0_sel:WORD_1 src1_sel:DWORD
	v_fma_f16 v2, v24, v13, v2
	v_fma_f16 v1, v24, v1, -v3
	v_pack_b32_f16 v1, v2, v1
	ds_write_b32 v25, v1 offset:448
	s_waitcnt vmcnt(3)
	v_lshrrev_b32_e32 v1, 16, v14
	s_waitcnt vmcnt(2)
	v_mul_f16_sdwa v2, v23, v1 dst_sel:DWORD dst_unused:UNUSED_PAD src0_sel:WORD_1 src1_sel:DWORD
	v_mul_f16_sdwa v3, v23, v14 dst_sel:DWORD dst_unused:UNUSED_PAD src0_sel:WORD_1 src1_sel:DWORD
	v_fma_f16 v2, v23, v14, v2
	v_fma_f16 v1, v23, v1, -v3
	v_pack_b32_f16 v1, v2, v1
	ds_write_b32 v25, v1 offset:576
	s_waitcnt vmcnt(0)
	v_lshrrev_b32_e32 v1, 16, v0
	v_mul_f16_sdwa v2, v22, v1 dst_sel:DWORD dst_unused:UNUSED_PAD src0_sel:WORD_1 src1_sel:DWORD
	v_fma_f16 v2, v22, v0, v2
	v_mul_f16_sdwa v0, v22, v0 dst_sel:DWORD dst_unused:UNUSED_PAD src0_sel:WORD_1 src1_sel:DWORD
	v_fma_f16 v0, v22, v1, -v0
	v_pack_b32_f16 v0, v2, v0
	ds_write_b32 v25, v0 offset:704
	s_waitcnt lgkmcnt(0)
	s_barrier
	ds_read2_b32 v[0:1], v27 offset1:16
	ds_read2_b32 v[2:3], v27 offset0:32 offset1:48
	ds_read2_b32 v[4:5], v25 offset0:64 offset1:80
	;; [unrolled: 1-line block ×5, first 2 shown]
	s_waitcnt lgkmcnt(0)
	v_pk_add_f16 v12, v0, v4
	s_barrier
	v_pk_add_f16 v15, v4, v8
	v_pk_add_f16 v4, v4, v8 neg_lo:[0,1] neg_hi:[0,1]
	v_pk_fma_f16 v0, v15, 0.5, v0 op_sel_hi:[1,0,1] neg_lo:[1,0,0] neg_hi:[1,0,0]
	v_pk_mul_f16 v4, v4, s10 op_sel_hi:[1,0]
	v_pk_add_f16 v13, v12, v8
	v_pk_add_f16 v8, v0, v4 op_sel:[0,1] op_sel_hi:[1,0]
	v_pk_add_f16 v4, v0, v4 op_sel:[0,1] op_sel_hi:[1,0] neg_lo:[0,1] neg_hi:[0,1]
	v_pk_add_f16 v0, v6, v10
	v_pk_add_f16 v12, v2, v6
	v_pk_fma_f16 v0, v0, 0.5, v2 op_sel_hi:[1,0,1] neg_lo:[1,0,0] neg_hi:[1,0,0]
	v_pk_add_f16 v2, v6, v10 neg_lo:[0,1] neg_hi:[0,1]
	v_pk_fma_f16 v6, v2, s10, v0 op_sel:[0,0,1] op_sel_hi:[1,0,0]
	v_pk_fma_f16 v0, v2, s10, v0 op_sel:[0,0,1] op_sel_hi:[1,0,0] neg_lo:[1,0,0] neg_hi:[1,0,0]
	v_pk_add_f16 v14, v12, v10
	v_lshrrev_b32_e32 v10, 16, v6
	v_bfi_b32 v2, s12, v6, v0
	v_mul_f16_e32 v6, 0x3aee, v0
	v_fma_f16 v6, v10, 0.5, v6
	v_mul_f16_e32 v10, 0xbaee, v10
	v_fma_f16 v0, v0, 0.5, v10
	v_pk_mul_f16 v10, v2, 0.5 op_sel_hi:[1,0]
	v_pk_fma_f16 v2, v2, s13, v10 op_sel:[0,0,1] op_sel_hi:[1,1,0] neg_lo:[0,0,1] neg_hi:[0,0,1]
	v_bfi_b32 v10, s12, v4, v8
	v_pk_add_f16 v12, v13, v14
	v_pk_add_f16 v15, v13, v14 neg_lo:[0,1] neg_hi:[0,1]
	v_pk_add_f16 v14, v10, v2
	v_add_f16_e32 v10, v8, v6
	v_sub_f16_e32 v6, v8, v6
	v_sub_f16_sdwa v8, v8, v2 dst_sel:DWORD dst_unused:UNUSED_PAD src0_sel:WORD_1 src1_sel:WORD_1
	v_pack_b32_f16 v2, v0, v2
	v_add_f16_sdwa v0, v4, v0 dst_sel:DWORD dst_unused:UNUSED_PAD src0_sel:WORD_1 src1_sel:DWORD
	v_pack_b32_f16 v13, v10, v0
	v_mov_b32_e32 v0, v19
	v_mad_u64_u32 v[19:20], s[14:15], s11, v20, v[0:1]
	v_or_b32_e32 v20, 16, v35
	v_pk_add_f16 v0, v4, v2 op_sel:[1,0] op_sel_hi:[0,1] neg_lo:[0,1] neg_hi:[0,1]
	v_mul_u32_u24_e32 v2, 6, v35
	v_add_lshl_u32 v40, v44, v2, 2
	v_mul_u32_u24_e32 v2, 6, v20
	v_add_lshl_u32 v39, v44, v2, 2
	v_pk_add_f16 v2, v1, v5
	v_pk_add_f16 v4, v2, v9
	;; [unrolled: 1-line block ×5, first 2 shown]
	v_pk_fma_f16 v1, v2, 0.5, v1 op_sel_hi:[1,0,1] neg_lo:[1,0,0] neg_hi:[1,0,0]
	v_pk_add_f16 v2, v5, v9 neg_lo:[0,1] neg_hi:[0,1]
	v_pk_mul_f16 v2, v2, s10 op_sel_hi:[1,0]
	ds_write2_b64 v40, v[12:13], v[14:15] offset1:1
	v_pack_b32_f16 v12, v6, v0
	v_pk_add_f16 v5, v1, v2 op_sel:[0,1] op_sel_hi:[1,0]
	v_pk_add_f16 v6, v1, v2 op_sel:[0,1] op_sel_hi:[1,0] neg_lo:[0,1] neg_hi:[0,1]
	v_pk_add_f16 v2, v7, v11
	v_pk_fma_f16 v2, v2, 0.5, v3 op_sel_hi:[1,0,1] neg_lo:[1,0,0] neg_hi:[1,0,0]
	v_pk_add_f16 v3, v7, v11 neg_lo:[0,1] neg_hi:[0,1]
	v_pk_fma_f16 v7, v3, s10, v2 op_sel:[0,0,1] op_sel_hi:[1,0,0]
	v_pk_fma_f16 v2, v3, s10, v2 op_sel:[0,0,1] op_sel_hi:[1,0,0] neg_lo:[1,0,0] neg_hi:[1,0,0]
	v_alignbit_b32 v13, v8, v0, 16
	v_lshrrev_b32_e32 v8, 16, v7
	v_bfi_b32 v3, s12, v7, v2
	v_mul_f16_e32 v7, 0x3aee, v2
	v_fma_f16 v7, v8, 0.5, v7
	v_mul_f16_e32 v8, 0xbaee, v8
	v_fma_f16 v8, v2, 0.5, v8
	v_pk_mul_f16 v2, v3, 0.5 op_sel_hi:[1,0]
	ds_write_b64 v40, v[12:13] offset:16
	v_bfi_b32 v1, s12, v6, v5
	v_add_f16_e32 v9, v5, v7
	v_add_f16_sdwa v11, v6, v8 dst_sel:DWORD dst_unused:UNUSED_PAD src0_sel:WORD_1 src1_sel:DWORD
	v_pk_fma_f16 v12, v3, s13, v2 op_sel:[0,0,1] op_sel_hi:[1,1,0] neg_lo:[0,0,1] neg_hi:[0,0,1]
	v_pk_add_f16 v0, v4, v10
	v_pk_add_f16 v2, v1, v12
	v_pk_add_f16 v3, v4, v10 neg_lo:[0,1] neg_hi:[0,1]
	v_pack_b32_f16 v1, v9, v11
	ds_write2_b64 v39, v[0:1], v[2:3] offset1:1
	v_pack_b32_f16 v0, v8, v12
	v_sub_f16_e32 v7, v5, v7
	v_sub_f16_sdwa v5, v5, v12 dst_sel:DWORD dst_unused:UNUSED_PAD src0_sel:WORD_1 src1_sel:WORD_1
	v_pk_add_f16 v0, v6, v0 op_sel:[1,0] op_sel_hi:[0,1] neg_lo:[0,1] neg_hi:[0,1]
	v_alignbit_b32 v1, v5, v0, 16
	v_pack_b32_f16 v0, v7, v0
	v_mul_lo_u16_e32 v6, 43, v35
	v_mov_b32_e32 v5, 6
	ds_write_b64 v39, v[0:1] offset:16
	v_mul_lo_u16_sdwa v0, v6, v5 dst_sel:DWORD dst_unused:UNUSED_PAD src0_sel:BYTE_1 src1_sel:DWORD
	v_sub_u16_e32 v7, v35, v0
	v_mul_lo_u16_e32 v0, 12, v7
	v_and_b32_e32 v0, 0xfc, v0
	v_add_co_u32_e32 v0, vcc, s2, v0
	v_addc_co_u32_e32 v1, vcc, 0, v50, vcc
	s_waitcnt lgkmcnt(0)
	s_barrier
	global_load_dwordx3 v[0:2], v[0:1], off
	ds_read2_b32 v[3:4], v27 offset0:32 offset1:48
	v_or_b32_e32 v11, 32, v35
	v_mul_lo_u16_e32 v42, 43, v20
	v_mul_lo_u16_e32 v45, 43, v11
	v_mul_lo_u16_sdwa v9, v42, v5 dst_sel:DWORD dst_unused:UNUSED_PAD src0_sel:BYTE_1 src1_sel:DWORD
	s_waitcnt lgkmcnt(0)
	v_lshrrev_b32_e32 v8, 16, v4
	v_mul_lo_u16_sdwa v12, v45, v5 dst_sel:DWORD dst_unused:UNUSED_PAD src0_sel:BYTE_1 src1_sel:DWORD
	v_sub_u16_e32 v46, v11, v12
	ds_read2_b32 v[12:13], v27 offset0:128 offset1:144
	v_mul_lo_u16_sdwa v6, v6, v47 dst_sel:DWORD dst_unused:UNUSED_PAD src0_sel:BYTE_1 src1_sel:DWORD
	ds_read2_b32 v[14:15], v27 offset1:16
	v_or_b32_e32 v41, v6, v7
	v_sub_u16_e32 v43, v20, v9
	v_mul_lo_u16_e32 v9, 12, v43
	v_and_b32_e32 v9, 0xfc, v9
	v_and_b32_e32 v41, 0xff, v41
	v_add_lshl_u32 v41, v44, v41, 2
	v_mul_lo_u16_sdwa v42, v42, v47 dst_sel:DWORD dst_unused:UNUSED_PAD src0_sel:BYTE_1 src1_sel:DWORD
	v_or_b32_e32 v42, v42, v43
	s_mov_b32 s11, 0x8000
	s_waitcnt vmcnt(0)
	v_mul_f16_sdwa v10, v8, v0 dst_sel:DWORD dst_unused:UNUSED_PAD src0_sel:DWORD src1_sel:WORD_1
	v_fma_f16 v10, v4, v0, -v10
	v_mul_f16_sdwa v4, v4, v0 dst_sel:DWORD dst_unused:UNUSED_PAD src0_sel:DWORD src1_sel:WORD_1
	v_fma_f16 v8, v8, v0, v4
	ds_read2_b32 v[4:5], v27 offset0:96 offset1:112
	s_waitcnt lgkmcnt(2)
	v_mul_f16_sdwa v11, v13, v2 dst_sel:DWORD dst_unused:UNUSED_PAD src0_sel:DWORD src1_sel:WORD_1
	s_waitcnt lgkmcnt(0)
	v_lshrrev_b32_e32 v6, 16, v4
	v_mul_f16_sdwa v7, v4, v1 dst_sel:DWORD dst_unused:UNUSED_PAD src0_sel:DWORD src1_sel:WORD_1
	v_fma_f16 v7, v6, v1, v7
	v_mul_f16_sdwa v6, v6, v1 dst_sel:DWORD dst_unused:UNUSED_PAD src0_sel:DWORD src1_sel:WORD_1
	v_fma_f16 v4, v4, v1, -v6
	v_lshrrev_b32_e32 v6, 16, v13
	v_fma_f16 v11, v6, v2, v11
	v_mul_f16_sdwa v6, v6, v2 dst_sel:DWORD dst_unused:UNUSED_PAD src0_sel:DWORD src1_sel:WORD_1
	v_fma_f16 v6, v13, v2, -v6
	v_lshrrev_b32_e32 v13, 16, v14
	v_sub_f16_e32 v4, v14, v4
	v_sub_f16_e32 v7, v13, v7
	;; [unrolled: 1-line block ×4, first 2 shown]
	v_fma_f16 v13, v13, 2.0, -v7
	v_fma_f16 v8, v8, 2.0, -v11
	v_sub_f16_e32 v52, v4, v11
	v_add_f16_e32 v53, v7, v6
	v_fma_f16 v10, v10, 2.0, -v6
	v_fma_f16 v14, v14, 2.0, -v4
	v_sub_f16_e32 v49, v13, v8
	v_fma_f16 v4, v4, 2.0, -v52
	v_fma_f16 v6, v7, 2.0, -v53
	v_sub_f16_e32 v48, v14, v10
	v_fma_f16 v10, v13, 2.0, -v49
	v_add_co_u32_e32 v13, vcc, s2, v9
	v_pack_b32_f16 v4, v4, v6
	v_mul_lo_u16_e32 v6, 12, v46
	v_fma_f16 v8, v14, 2.0, -v48
	v_addc_co_u32_e32 v14, vcc, 0, v50, vcc
	v_and_b32_e32 v6, 0xfc, v6
	v_add_co_u32_e32 v16, vcc, s2, v6
	v_pack_b32_f16 v51, v8, v10
	v_addc_co_u32_e32 v17, vcc, 0, v50, vcc
	global_load_dwordx3 v[6:8], v[13:14], off
	global_load_dwordx3 v[9:11], v[16:17], off
	ds_read2_b32 v[13:14], v27 offset0:64 offset1:80
	ds_read2_b32 v[16:17], v27 offset0:160 offset1:176
	s_waitcnt vmcnt(0) lgkmcnt(0)
	s_barrier
	ds_write2_b32 v41, v51, v4 offset1:6
	v_pack_b32_f16 v4, v48, v49
	v_pack_b32_f16 v48, v52, v53
	ds_write2_b32 v41, v4, v48 offset0:12 offset1:18
	v_lshrrev_b32_e32 v4, 16, v5
	v_lshrrev_b32_e32 v43, 16, v13
	v_cmp_gt_u64_e32 vcc, 24, v[20:21]
	v_mul_f16_sdwa v49, v13, v6 dst_sel:DWORD dst_unused:UNUSED_PAD src0_sel:DWORD src1_sel:WORD_1
	v_mul_f16_sdwa v48, v4, v7 dst_sel:DWORD dst_unused:UNUSED_PAD src0_sel:DWORD src1_sel:WORD_1
	v_fma_f16 v49, v43, v6, v49
	v_mul_f16_sdwa v43, v43, v6 dst_sel:DWORD dst_unused:UNUSED_PAD src0_sel:DWORD src1_sel:WORD_1
	v_fma_f16 v48, v5, v7, -v48
	v_mul_f16_sdwa v5, v5, v7 dst_sel:DWORD dst_unused:UNUSED_PAD src0_sel:DWORD src1_sel:WORD_1
	v_fma_f16 v13, v13, v6, -v43
	v_lshrrev_b32_e32 v43, 16, v16
	v_mul_f16_sdwa v51, v16, v8 dst_sel:DWORD dst_unused:UNUSED_PAD src0_sel:DWORD src1_sel:WORD_1
	v_fma_f16 v4, v4, v7, v5
	v_sub_f16_e32 v5, v15, v48
	v_lshrrev_b32_e32 v48, 16, v15
	v_fma_f16 v51, v43, v8, v51
	v_mul_f16_sdwa v43, v43, v8 dst_sel:DWORD dst_unused:UNUSED_PAD src0_sel:DWORD src1_sel:WORD_1
	v_fma_f16 v16, v16, v8, -v43
	v_sub_f16_e32 v4, v48, v4
	v_fma_f16 v43, v48, 2.0, -v4
	v_sub_f16_e32 v16, v13, v16
	v_sub_f16_e32 v48, v49, v51
	v_fma_f16 v15, v15, 2.0, -v5
	v_fma_f16 v13, v13, 2.0, -v16
	;; [unrolled: 1-line block ×3, first 2 shown]
	v_sub_f16_e32 v13, v15, v13
	v_sub_f16_e32 v49, v43, v49
	v_fma_f16 v15, v15, 2.0, -v13
	v_fma_f16 v43, v43, 2.0, -v49
	v_pack_b32_f16 v15, v15, v43
	v_sub_f16_e32 v43, v5, v48
	v_add_f16_e32 v16, v4, v16
	v_fma_f16 v5, v5, 2.0, -v43
	v_fma_f16 v4, v4, 2.0, -v16
	v_pack_b32_f16 v4, v5, v4
	v_and_b32_e32 v5, 0xff, v42
	v_add_lshl_u32 v42, v44, v5, 2
	ds_write2_b32 v42, v15, v4 offset1:6
	v_pack_b32_f16 v4, v13, v49
	v_pack_b32_f16 v5, v43, v16
	ds_write2_b32 v42, v4, v5 offset0:12 offset1:18
	v_lshrrev_b32_e32 v4, 16, v14
	v_mul_f16_sdwa v13, v14, v9 dst_sel:DWORD dst_unused:UNUSED_PAD src0_sel:DWORD src1_sel:WORD_1
	v_mul_f16_sdwa v5, v4, v9 dst_sel:DWORD dst_unused:UNUSED_PAD src0_sel:DWORD src1_sel:WORD_1
	v_fma_f16 v4, v4, v9, v13
	v_lshrrev_b32_e32 v13, 16, v12
	v_fma_f16 v5, v14, v9, -v5
	v_mul_f16_sdwa v14, v13, v10 dst_sel:DWORD dst_unused:UNUSED_PAD src0_sel:DWORD src1_sel:WORD_1
	v_fma_f16 v14, v12, v10, -v14
	v_mul_f16_sdwa v12, v12, v10 dst_sel:DWORD dst_unused:UNUSED_PAD src0_sel:DWORD src1_sel:WORD_1
	v_fma_f16 v12, v13, v10, v12
	v_lshrrev_b32_e32 v13, 16, v17
	v_mul_f16_sdwa v15, v13, v11 dst_sel:DWORD dst_unused:UNUSED_PAD src0_sel:DWORD src1_sel:WORD_1
	v_mul_f16_sdwa v16, v17, v11 dst_sel:DWORD dst_unused:UNUSED_PAD src0_sel:DWORD src1_sel:WORD_1
	v_fma_f16 v15, v17, v11, -v15
	v_fma_f16 v13, v13, v11, v16
	v_lshrrev_b32_e32 v16, 16, v3
	v_sub_f16_e32 v14, v3, v14
	v_sub_f16_e32 v12, v16, v12
	;; [unrolled: 1-line block ×4, first 2 shown]
	v_fma_f16 v3, v3, 2.0, -v14
	v_mul_lo_u16_sdwa v17, v45, v47 dst_sel:DWORD dst_unused:UNUSED_PAD src0_sel:BYTE_1 src1_sel:DWORD
	v_fma_f16 v16, v16, 2.0, -v12
	v_fma_f16 v5, v5, 2.0, -v15
	;; [unrolled: 1-line block ×3, first 2 shown]
	v_sub_f16_e32 v13, v14, v13
	v_add_f16_e32 v15, v12, v15
	v_or_b32_e32 v17, v17, v46
	v_sub_f16_e32 v5, v3, v5
	v_sub_f16_e32 v4, v16, v4
	v_fma_f16 v14, v14, 2.0, -v13
	v_fma_f16 v12, v12, 2.0, -v15
	v_mad_u64_u32 v[45:46], s[14:15], v35, 12, s[2:3]
	v_fma_f16 v3, v3, 2.0, -v5
	v_fma_f16 v16, v16, 2.0, -v4
	v_pack_b32_f16 v12, v14, v12
	v_and_b32_e32 v14, 0xff, v17
	v_pack_b32_f16 v3, v3, v16
	v_add_lshl_u32 v43, v44, v14, 2
	ds_write2_b32 v43, v3, v12 offset1:6
	v_pack_b32_f16 v3, v5, v4
	v_pack_b32_f16 v4, v13, v15
	ds_write2_b32 v43, v3, v4 offset0:12 offset1:18
	s_waitcnt lgkmcnt(0)
	s_barrier
	global_load_dwordx3 v[3:5], v[45:46], off offset:72
	ds_read2_b32 v[53:54], v27 offset0:128 offset1:144
	ds_read2_b32 v[47:48], v27 offset0:32 offset1:48
	;; [unrolled: 1-line block ×3, first 2 shown]
	v_add_u32_e32 v12, -8, v35
	v_cndmask_b32_e32 v56, v12, v20, vcc
	s_waitcnt lgkmcnt(2)
	v_lshrrev_b32_e32 v16, 16, v54
	v_mul_i32_i24_e32 v13, 12, v56
	v_mul_hi_i32_i24_e32 v12, 12, v56
	v_add_co_u32_e32 v49, vcc, s2, v13
	v_addc_co_u32_e32 v50, vcc, v50, v12, vcc
	s_waitcnt lgkmcnt(1)
	v_lshrrev_b32_e32 v12, 16, v48
	s_waitcnt lgkmcnt(0)
	v_lshrrev_b32_e32 v14, 16, v51
	v_cmp_lt_u64_e32 vcc, 23, v[20:21]
	v_lshrrev_b32_e32 v20, 16, v52
	s_waitcnt vmcnt(0)
	v_mul_f16_sdwa v17, v54, v5 dst_sel:DWORD dst_unused:UNUSED_PAD src0_sel:DWORD src1_sel:WORD_1
	v_fma_f16 v17, v16, v5, v17
	v_mul_f16_sdwa v16, v16, v5 dst_sel:DWORD dst_unused:UNUSED_PAD src0_sel:DWORD src1_sel:WORD_1
	v_fma_f16 v16, v54, v5, -v16
	ds_read2_b32 v[54:55], v27 offset1:16
	v_mul_f16_sdwa v13, v48, v3 dst_sel:DWORD dst_unused:UNUSED_PAD src0_sel:DWORD src1_sel:WORD_1
	v_mul_f16_sdwa v15, v51, v4 dst_sel:DWORD dst_unused:UNUSED_PAD src0_sel:DWORD src1_sel:WORD_1
	v_fma_f16 v13, v12, v3, v13
	v_mul_f16_sdwa v12, v12, v3 dst_sel:DWORD dst_unused:UNUSED_PAD src0_sel:DWORD src1_sel:WORD_1
	v_fma_f16 v15, v14, v4, v15
	v_mul_f16_sdwa v14, v14, v4 dst_sel:DWORD dst_unused:UNUSED_PAD src0_sel:DWORD src1_sel:WORD_1
	v_fma_f16 v12, v48, v3, -v12
	v_fma_f16 v14, v51, v4, -v14
	s_waitcnt lgkmcnt(0)
	v_lshrrev_b32_e32 v48, 16, v54
	v_sub_f16_e32 v14, v54, v14
	v_sub_f16_e32 v15, v48, v15
	;; [unrolled: 1-line block ×4, first 2 shown]
	v_fma_f16 v48, v48, 2.0, -v15
	v_fma_f16 v12, v12, 2.0, -v16
	;; [unrolled: 1-line block ×4, first 2 shown]
	v_sub_f16_e32 v54, v51, v12
	v_sub_f16_e32 v57, v48, v13
	v_fma_f16 v12, v51, 2.0, -v54
	v_fma_f16 v13, v48, 2.0, -v57
	v_sub_f16_e32 v58, v14, v17
	v_add_f16_e32 v59, v15, v16
	v_pack_b32_f16 v51, v12, v13
	v_fma_f16 v12, v14, 2.0, -v58
	v_fma_f16 v13, v15, 2.0, -v59
	v_pack_b32_f16 v60, v12, v13
	global_load_dwordx3 v[12:14], v[49:50], off offset:72
	global_load_dwordx3 v[15:17], v[45:46], off offset:168
	ds_read2_b32 v[45:46], v27 offset0:64 offset1:80
	ds_read2_b32 v[48:49], v27 offset0:160 offset1:176
	s_waitcnt vmcnt(0) lgkmcnt(0)
	s_barrier
	ds_write2_b32 v27, v51, v60 offset1:24
	v_pack_b32_f16 v50, v54, v57
	v_pack_b32_f16 v51, v58, v59
	ds_write2_b32 v27, v50, v51 offset0:48 offset1:72
	v_lshrrev_b32_e32 v51, 16, v55
	v_mul_f16_sdwa v50, v52, v13 dst_sel:DWORD dst_unused:UNUSED_PAD src0_sel:DWORD src1_sel:WORD_1
	v_mul_f16_sdwa v21, v20, v13 dst_sel:DWORD dst_unused:UNUSED_PAD src0_sel:DWORD src1_sel:WORD_1
	v_fma_f16 v50, v20, v13, v50
	v_mov_b32_e32 v20, 0x60
	v_cndmask_b32_e32 v20, 0, v20, vcc
	v_or_b32_e32 v20, v20, v56
	v_fma_f16 v21, v52, v13, -v21
	v_add_lshl_u32 v20, v44, v20, 2
	v_lshrrev_b32_e32 v44, 16, v45
	v_mul_f16_sdwa v54, v45, v12 dst_sel:DWORD dst_unused:UNUSED_PAD src0_sel:DWORD src1_sel:WORD_1
	v_sub_f16_e32 v21, v55, v21
	v_fma_f16 v54, v44, v12, v54
	v_mul_f16_sdwa v44, v44, v12 dst_sel:DWORD dst_unused:UNUSED_PAD src0_sel:DWORD src1_sel:WORD_1
	v_fma_f16 v52, v55, 2.0, -v21
	v_fma_f16 v44, v45, v12, -v44
	v_lshrrev_b32_e32 v45, 16, v48
	v_mul_f16_sdwa v55, v48, v14 dst_sel:DWORD dst_unused:UNUSED_PAD src0_sel:DWORD src1_sel:WORD_1
	v_fma_f16 v55, v45, v14, v55
	v_mul_f16_sdwa v45, v45, v14 dst_sel:DWORD dst_unused:UNUSED_PAD src0_sel:DWORD src1_sel:WORD_1
	v_fma_f16 v45, v48, v14, -v45
	v_sub_f16_e32 v48, v51, v50
	v_fma_f16 v50, v51, 2.0, -v48
	v_sub_f16_e32 v45, v44, v45
	v_sub_f16_e32 v51, v54, v55
	v_fma_f16 v44, v44, 2.0, -v45
	v_fma_f16 v54, v54, 2.0, -v51
	v_sub_f16_e32 v44, v52, v44
	v_sub_f16_e32 v54, v50, v54
	;; [unrolled: 1-line block ×3, first 2 shown]
	v_add_f16_e32 v45, v48, v45
	v_fma_f16 v52, v52, 2.0, -v44
	v_fma_f16 v50, v50, 2.0, -v54
	;; [unrolled: 1-line block ×4, first 2 shown]
	v_pack_b32_f16 v50, v52, v50
	v_pack_b32_f16 v21, v21, v48
	ds_write2_b32 v20, v50, v21 offset1:24
	v_pack_b32_f16 v21, v44, v54
	v_pack_b32_f16 v44, v51, v45
	ds_write2_b32 v20, v21, v44 offset0:48 offset1:72
	v_lshrrev_b32_e32 v21, 16, v46
	v_mul_f16_sdwa v45, v46, v15 dst_sel:DWORD dst_unused:UNUSED_PAD src0_sel:DWORD src1_sel:WORD_1
	v_mul_f16_sdwa v44, v21, v15 dst_sel:DWORD dst_unused:UNUSED_PAD src0_sel:DWORD src1_sel:WORD_1
	v_fma_f16 v21, v21, v15, v45
	v_lshrrev_b32_e32 v45, 16, v53
	v_mul_f16_sdwa v48, v53, v16 dst_sel:DWORD dst_unused:UNUSED_PAD src0_sel:DWORD src1_sel:WORD_1
	v_fma_f16 v44, v46, v15, -v44
	v_mul_f16_sdwa v46, v45, v16 dst_sel:DWORD dst_unused:UNUSED_PAD src0_sel:DWORD src1_sel:WORD_1
	v_fma_f16 v45, v45, v16, v48
	v_lshrrev_b32_e32 v48, 16, v49
	v_mul_f16_sdwa v50, v48, v17 dst_sel:DWORD dst_unused:UNUSED_PAD src0_sel:DWORD src1_sel:WORD_1
	v_fma_f16 v50, v49, v17, -v50
	v_mul_f16_sdwa v49, v49, v17 dst_sel:DWORD dst_unused:UNUSED_PAD src0_sel:DWORD src1_sel:WORD_1
	v_fma_f16 v46, v53, v16, -v46
	v_fma_f16 v48, v48, v17, v49
	v_lshrrev_b32_e32 v49, 16, v47
	v_sub_f16_e32 v46, v47, v46
	v_sub_f16_e32 v45, v49, v45
	;; [unrolled: 1-line block ×4, first 2 shown]
	v_fma_f16 v47, v47, 2.0, -v46
	v_fma_f16 v49, v49, 2.0, -v45
	;; [unrolled: 1-line block ×4, first 2 shown]
	v_sub_f16_e32 v44, v47, v44
	v_sub_f16_e32 v21, v49, v21
	v_fma_f16 v47, v47, 2.0, -v44
	v_fma_f16 v49, v49, 2.0, -v21
	v_pack_b32_f16 v47, v47, v49
	v_sub_f16_e32 v48, v46, v48
	v_add_f16_e32 v49, v45, v50
	v_fma_f16 v46, v46, 2.0, -v48
	v_fma_f16 v45, v45, 2.0, -v49
	v_pack_b32_f16 v45, v46, v45
	v_pack_b32_f16 v21, v44, v21
	;; [unrolled: 1-line block ×3, first 2 shown]
	ds_write2_b32 v27, v47, v45 offset0:104 offset1:128
	ds_write2_b32 v27, v21, v44 offset0:152 offset1:176
	s_waitcnt lgkmcnt(0)
	s_barrier
	global_load_dword v21, v38, s[2:3] offset:360
	global_load_dword v44, v38, s[2:3] offset:424
	ds_read2_b32 v[45:46], v27 offset0:96 offset1:112
	s_waitcnt lgkmcnt(0)
	v_lshrrev_b32_e32 v47, 16, v45
	s_waitcnt vmcnt(1)
	v_mul_f16_sdwa v48, v45, v21 dst_sel:DWORD dst_unused:UNUSED_PAD src0_sel:DWORD src1_sel:WORD_1
	v_fma_f16 v49, v47, v21, v48
	v_mul_f16_sdwa v47, v47, v21 dst_sel:DWORD dst_unused:UNUSED_PAD src0_sel:DWORD src1_sel:WORD_1
	v_fma_f16 v50, v45, v21, -v47
	v_lshrrev_b32_e32 v47, 16, v46
	s_waitcnt vmcnt(0)
	v_mul_f16_sdwa v45, v47, v44 dst_sel:DWORD dst_unused:UNUSED_PAD src0_sel:DWORD src1_sel:WORD_1
	v_fma_f16 v51, v46, v44, -v45
	global_load_dword v45, v38, s[2:3] offset:488
	v_mul_f16_sdwa v46, v46, v44 dst_sel:DWORD dst_unused:UNUSED_PAD src0_sel:DWORD src1_sel:WORD_1
	v_fma_f16 v53, v47, v44, v46
	ds_read2_b32 v[46:47], v27 offset0:128 offset1:144
	s_waitcnt lgkmcnt(0)
	v_lshrrev_b32_e32 v48, 16, v46
	s_waitcnt vmcnt(0)
	v_mul_f16_sdwa v52, v46, v45 dst_sel:DWORD dst_unused:UNUSED_PAD src0_sel:DWORD src1_sel:WORD_1
	v_fma_f16 v54, v48, v45, v52
	v_mul_f16_sdwa v48, v48, v45 dst_sel:DWORD dst_unused:UNUSED_PAD src0_sel:DWORD src1_sel:WORD_1
	v_fma_f16 v52, v46, v45, -v48
	global_load_dword v46, v38, s[2:3] offset:552
	v_lshrrev_b32_e32 v48, 16, v47
	s_waitcnt vmcnt(0)
	v_mul_f16_sdwa v55, v48, v46 dst_sel:DWORD dst_unused:UNUSED_PAD src0_sel:DWORD src1_sel:WORD_1
	v_fma_f16 v55, v47, v46, -v55
	v_mul_f16_sdwa v47, v47, v46 dst_sel:DWORD dst_unused:UNUSED_PAD src0_sel:DWORD src1_sel:WORD_1
	v_fma_f16 v56, v48, v46, v47
	ds_read2_b32 v[47:48], v27 offset1:16
	s_waitcnt lgkmcnt(0)
	v_sub_f16_e32 v50, v47, v50
	v_sub_f16_e32 v57, v48, v51
	v_lshrrev_b32_e32 v51, 16, v47
	v_lshrrev_b32_e32 v58, 16, v48
	v_fma_f16 v59, v47, 2.0, -v50
	v_fma_f16 v60, v48, 2.0, -v57
	ds_read2_b32 v[47:48], v27 offset0:32 offset1:48
	v_sub_f16_e32 v49, v51, v49
	v_fma_f16 v51, v51, 2.0, -v49
	v_sub_f16_e32 v53, v58, v53
	v_pack_b32_f16 v51, v59, v51
	v_fma_f16 v58, v58, 2.0, -v53
	s_waitcnt lgkmcnt(0)
	v_lshrrev_b32_e32 v62, 16, v47
	ds_write_b32 v27, v51
	v_pack_b32_f16 v59, v50, v49
	v_pack_b32_f16 v58, v60, v58
	;; [unrolled: 1-line block ×3, first 2 shown]
	v_sub_f16_e32 v61, v47, v52
	ds_read2_b32 v[49:50], v27 offset0:64 offset1:80
	ds_read2_b32 v[51:52], v27 offset0:160 offset1:176
	ds_write_b32 v25, v59 offset:384
	ds_write_b32 v27, v58 offset:64
	;; [unrolled: 1-line block ×3, first 2 shown]
	v_sub_f16_e32 v53, v62, v54
	v_fma_f16 v47, v47, 2.0, -v61
	v_fma_f16 v54, v62, 2.0, -v53
	v_pack_b32_f16 v47, v47, v54
	v_lshrrev_b32_e32 v63, 16, v48
	ds_write_b32 v27, v47 offset:128
	v_pack_b32_f16 v47, v61, v53
	v_sub_f16_e32 v55, v48, v55
	ds_write_b32 v25, v47 offset:512
	v_sub_f16_e32 v47, v63, v56
	v_fma_f16 v48, v48, 2.0, -v55
	v_fma_f16 v53, v63, 2.0, -v47
	v_pack_b32_f16 v48, v48, v53
	ds_write_b32 v27, v48 offset:192
	v_pack_b32_f16 v48, v55, v47
	global_load_dword v47, v38, s[2:3] offset:616
	s_waitcnt lgkmcnt(6)
	v_lshrrev_b32_e32 v53, 16, v51
	s_waitcnt vmcnt(0)
	v_mul_f16_sdwa v54, v51, v47 dst_sel:DWORD dst_unused:UNUSED_PAD src0_sel:DWORD src1_sel:WORD_1
	v_fma_f16 v54, v53, v47, v54
	v_mul_f16_sdwa v53, v53, v47 dst_sel:DWORD dst_unused:UNUSED_PAD src0_sel:DWORD src1_sel:WORD_1
	v_fma_f16 v51, v51, v47, -v53
	v_lshrrev_b32_e32 v53, 16, v49
	v_sub_f16_e32 v51, v49, v51
	v_sub_f16_e32 v54, v53, v54
	v_pack_b32_f16 v55, v51, v54
	ds_write2_b32 v25, v48, v55 offset0:144 offset1:160
	global_load_dword v48, v38, s[2:3] offset:680
	v_lshrrev_b32_e32 v55, 16, v52
	v_fma_f16 v53, v53, 2.0, -v54
	v_lshrrev_b32_e32 v54, 16, v50
	v_fma_f16 v49, v49, 2.0, -v51
	v_pack_b32_f16 v49, v49, v53
	s_mov_b32 s2, 0x55555555
	s_mov_b32 s3, 0x3f755555
	s_waitcnt vmcnt(0)
	v_mul_f16_sdwa v56, v55, v48 dst_sel:DWORD dst_unused:UNUSED_PAD src0_sel:DWORD src1_sel:WORD_1
	v_fma_f16 v56, v52, v48, -v56
	v_mul_f16_sdwa v52, v52, v48 dst_sel:DWORD dst_unused:UNUSED_PAD src0_sel:DWORD src1_sel:WORD_1
	v_fma_f16 v52, v55, v48, v52
	v_sub_f16_e32 v51, v50, v56
	v_sub_f16_e32 v52, v54, v52
	v_fma_f16 v50, v50, 2.0, -v51
	v_fma_f16 v53, v54, 2.0, -v52
	v_pack_b32_f16 v50, v50, v53
	ds_write2_b32 v25, v49, v50 offset0:64 offset1:80
	v_pack_b32_f16 v49, v51, v52
	ds_write_b32 v25, v49 offset:704
	s_waitcnt lgkmcnt(0)
	s_barrier
	global_load_dword v49, v38, s[0:1] offset:768
	ds_read_b32 v50, v27
	s_mov_b32 s0, 0xb8003800
	s_waitcnt lgkmcnt(0)
	v_lshrrev_b32_e32 v51, 16, v50
	s_waitcnt vmcnt(0)
	v_mul_f16_sdwa v52, v51, v49 dst_sel:DWORD dst_unused:UNUSED_PAD src0_sel:DWORD src1_sel:WORD_1
	v_fma_f16 v52, v50, v49, -v52
	v_mul_f16_sdwa v50, v50, v49 dst_sel:DWORD dst_unused:UNUSED_PAD src0_sel:DWORD src1_sel:WORD_1
	v_fma_f16 v51, v51, v49, v50
	global_load_dword v49, v38, s[6:7] offset:128
	ds_read_b32 v50, v27 offset:128
	s_waitcnt lgkmcnt(0)
	v_lshrrev_b32_e32 v53, 16, v50
	s_waitcnt vmcnt(0)
	v_mul_f16_sdwa v54, v53, v49 dst_sel:DWORD dst_unused:UNUSED_PAD src0_sel:DWORD src1_sel:WORD_1
	v_fma_f16 v54, v50, v49, -v54
	v_mul_f16_sdwa v50, v50, v49 dst_sel:DWORD dst_unused:UNUSED_PAD src0_sel:DWORD src1_sel:WORD_1
	v_fma_f16 v49, v53, v49, v50
	global_load_dword v53, v38, s[6:7] offset:256
	v_pack_b32_f16 v49, v54, v49
	ds_write_b32 v27, v49 offset:128
	ds_read2_b32 v[49:50], v27 offset0:64 offset1:96
	s_waitcnt lgkmcnt(0)
	v_lshrrev_b32_e32 v54, 16, v49
	s_waitcnt vmcnt(0)
	v_mul_f16_sdwa v55, v49, v53 dst_sel:DWORD dst_unused:UNUSED_PAD src0_sel:DWORD src1_sel:WORD_1
	v_fma_f16 v55, v54, v53, v55
	v_mul_f16_sdwa v54, v54, v53 dst_sel:DWORD dst_unused:UNUSED_PAD src0_sel:DWORD src1_sel:WORD_1
	v_fma_f16 v49, v49, v53, -v54
	global_load_dword v53, v38, s[6:7] offset:384
	v_lshrrev_b32_e32 v54, 16, v50
	v_pack_b32_f16 v49, v49, v55
	s_waitcnt vmcnt(0)
	v_mul_f16_sdwa v56, v54, v53 dst_sel:DWORD dst_unused:UNUSED_PAD src0_sel:DWORD src1_sel:WORD_1
	v_fma_f16 v56, v50, v53, -v56
	v_mul_f16_sdwa v50, v50, v53 dst_sel:DWORD dst_unused:UNUSED_PAD src0_sel:DWORD src1_sel:WORD_1
	v_fma_f16 v50, v54, v53, v50
	v_pack_b32_f16 v50, v56, v50
	ds_write2_b32 v27, v49, v50 offset0:64 offset1:96
	global_load_dword v50, v38, s[6:7] offset:512
	v_pack_b32_f16 v49, v52, v51
	ds_write_b32 v27, v49
	ds_read_b32 v49, v25 offset:512
	s_waitcnt lgkmcnt(0)
	v_lshrrev_b32_e32 v51, 16, v49
	s_waitcnt vmcnt(0)
	v_mul_f16_sdwa v52, v51, v50 dst_sel:DWORD dst_unused:UNUSED_PAD src0_sel:DWORD src1_sel:WORD_1
	v_fma_f16 v52, v49, v50, -v52
	v_mul_f16_sdwa v49, v49, v50 dst_sel:DWORD dst_unused:UNUSED_PAD src0_sel:DWORD src1_sel:WORD_1
	v_fma_f16 v49, v51, v50, v49
	global_load_dword v50, v38, s[6:7] offset:640
	ds_read_b32 v51, v25 offset:640
	v_pack_b32_f16 v49, v52, v49
	ds_write_b32 v25, v49 offset:512
	s_waitcnt lgkmcnt(1)
	v_lshrrev_b32_e32 v53, 16, v51
	s_waitcnt vmcnt(0)
	v_mul_f16_sdwa v54, v53, v50 dst_sel:DWORD dst_unused:UNUSED_PAD src0_sel:DWORD src1_sel:WORD_1
	v_fma_f16 v54, v51, v50, -v54
	v_mul_f16_sdwa v51, v51, v50 dst_sel:DWORD dst_unused:UNUSED_PAD src0_sel:DWORD src1_sel:WORD_1
	v_fma_f16 v50, v53, v50, v51
	v_pack_b32_f16 v49, v54, v50
	global_load_dword v50, v38, s[6:7] offset:64
	ds_write_b32 v25, v49 offset:640
	ds_read_b32 v49, v27 offset:64
	s_waitcnt lgkmcnt(0)
	v_lshrrev_b32_e32 v51, 16, v49
	s_waitcnt vmcnt(0)
	v_mul_f16_sdwa v52, v51, v50 dst_sel:DWORD dst_unused:UNUSED_PAD src0_sel:DWORD src1_sel:WORD_1
	v_fma_f16 v52, v49, v50, -v52
	v_mul_f16_sdwa v49, v49, v50 dst_sel:DWORD dst_unused:UNUSED_PAD src0_sel:DWORD src1_sel:WORD_1
	v_fma_f16 v49, v51, v50, v49
	global_load_dword v50, v38, s[6:7] offset:192
	ds_read_b32 v51, v27 offset:192
	v_pack_b32_f16 v49, v52, v49
	ds_write_b32 v27, v49 offset:64
	s_waitcnt lgkmcnt(1)
	v_lshrrev_b32_e32 v53, 16, v51
	s_waitcnt vmcnt(0)
	v_mul_f16_sdwa v54, v53, v50 dst_sel:DWORD dst_unused:UNUSED_PAD src0_sel:DWORD src1_sel:WORD_1
	v_fma_f16 v54, v51, v50, -v54
	v_mul_f16_sdwa v51, v51, v50 dst_sel:DWORD dst_unused:UNUSED_PAD src0_sel:DWORD src1_sel:WORD_1
	v_fma_f16 v50, v53, v50, v51
	v_pack_b32_f16 v49, v54, v50
	global_load_dword v50, v38, s[6:7] offset:320
	ds_write_b32 v27, v49 offset:192
	ds_read_b32 v49, v25 offset:320
	s_waitcnt lgkmcnt(0)
	v_lshrrev_b32_e32 v51, 16, v49
	s_waitcnt vmcnt(0)
	v_mul_f16_sdwa v52, v51, v50 dst_sel:DWORD dst_unused:UNUSED_PAD src0_sel:DWORD src1_sel:WORD_1
	v_fma_f16 v52, v49, v50, -v52
	v_mul_f16_sdwa v49, v49, v50 dst_sel:DWORD dst_unused:UNUSED_PAD src0_sel:DWORD src1_sel:WORD_1
	v_fma_f16 v49, v51, v50, v49
	global_load_dword v50, v38, s[6:7] offset:448
	v_pack_b32_f16 v49, v52, v49
	ds_write_b32 v25, v49 offset:320
	ds_read_b32 v49, v27 offset:448
	s_waitcnt lgkmcnt(0)
	v_lshrrev_b32_e32 v51, 16, v49
	s_waitcnt vmcnt(0)
	v_mul_f16_sdwa v52, v51, v50 dst_sel:DWORD dst_unused:UNUSED_PAD src0_sel:DWORD src1_sel:WORD_1
	v_fma_f16 v52, v49, v50, -v52
	v_mul_f16_sdwa v49, v49, v50 dst_sel:DWORD dst_unused:UNUSED_PAD src0_sel:DWORD src1_sel:WORD_1
	v_fma_f16 v49, v51, v50, v49
	global_load_dword v50, v38, s[6:7] offset:576
	v_pack_b32_f16 v49, v52, v49
	global_load_dword v38, v38, s[6:7] offset:704
	ds_write_b32 v27, v49 offset:448
	ds_read_b32 v49, v25 offset:576
	s_movk_i32 s6, 0x1ff
	s_movk_i32 s7, 0xffe
	s_waitcnt lgkmcnt(0)
	v_lshrrev_b32_e32 v51, 16, v49
	s_waitcnt vmcnt(1)
	v_mul_f16_sdwa v52, v51, v50 dst_sel:DWORD dst_unused:UNUSED_PAD src0_sel:DWORD src1_sel:WORD_1
	v_fma_f16 v52, v49, v50, -v52
	v_mul_f16_sdwa v49, v49, v50 dst_sel:DWORD dst_unused:UNUSED_PAD src0_sel:DWORD src1_sel:WORD_1
	v_fma_f16 v49, v51, v50, v49
	ds_read_b32 v50, v25 offset:704
	v_pack_b32_f16 v49, v52, v49
	ds_write_b32 v25, v49 offset:576
	s_waitcnt lgkmcnt(1)
	v_lshrrev_b32_e32 v51, 16, v50
	s_waitcnt vmcnt(0)
	v_mul_f16_sdwa v53, v51, v38 dst_sel:DWORD dst_unused:UNUSED_PAD src0_sel:DWORD src1_sel:WORD_1
	v_fma_f16 v53, v50, v38, -v53
	v_mul_f16_sdwa v50, v50, v38 dst_sel:DWORD dst_unused:UNUSED_PAD src0_sel:DWORD src1_sel:WORD_1
	v_fma_f16 v38, v51, v38, v50
	v_pack_b32_f16 v38, v53, v38
	ds_write_b32 v25, v38 offset:704
	s_waitcnt lgkmcnt(0)
	s_barrier
	ds_read2_b32 v[49:50], v27 offset0:64 offset1:96
	ds_read2_b32 v[51:52], v25 offset0:80 offset1:128
	ds_read2_b32 v[53:54], v27 offset1:16
	ds_read2_b32 v[57:58], v25 offset0:144 offset1:160
	s_waitcnt lgkmcnt(2)
	v_pk_add_f16 v38, v49, v52
	s_waitcnt lgkmcnt(1)
	v_pk_fma_f16 v38, v38, 0.5, v53 op_sel_hi:[1,0,1] neg_lo:[1,0,0] neg_hi:[1,0,0]
	v_pk_add_f16 v55, v49, v52 neg_lo:[0,1] neg_hi:[0,1]
	v_pk_fma_f16 v59, v55, s10, v38 op_sel:[0,0,1] op_sel_hi:[1,0,0] neg_lo:[1,0,0] neg_hi:[1,0,0]
	v_pk_fma_f16 v38, v55, s10, v38 op_sel:[0,0,1] op_sel_hi:[1,0,0]
	ds_read2_b32 v[55:56], v27 offset0:32 offset1:48
	s_waitcnt lgkmcnt(1)
	v_pk_add_f16 v60, v50, v58
	v_pk_add_f16 v49, v53, v49
	;; [unrolled: 1-line block ×3, first 2 shown]
	s_waitcnt lgkmcnt(0)
	v_pk_add_f16 v53, v55, v50
	v_pk_add_f16 v50, v50, v58 neg_lo:[0,1] neg_hi:[0,1]
	v_pk_fma_f16 v55, v60, 0.5, v55 op_sel_hi:[1,0,1] neg_lo:[1,0,0] neg_hi:[1,0,0]
	v_pk_fma_f16 v60, v50, s10, v55 op_sel:[0,0,1] op_sel_hi:[1,0,0]
	v_pk_fma_f16 v50, v50, s10, v55 op_sel:[0,0,1] op_sel_hi:[1,0,0] neg_lo:[1,0,0] neg_hi:[1,0,0]
	v_lshrrev_b32_e32 v55, 16, v50
	v_mul_f16_e32 v61, 0xbaee, v60
	v_fma_f16 v55, v55, 0.5, v61
	v_pk_mul_f16 v61, v50, s10 op_sel_hi:[1,0]
	v_pk_fma_f16 v62, v60, s0, v61 op_sel:[0,0,1] op_sel_hi:[1,1,0]
	v_pk_fma_f16 v61, v60, s0, v61 op_sel:[0,0,1] op_sel_hi:[1,1,0] neg_lo:[0,0,1] neg_hi:[0,0,1]
	v_lshrrev_b32_e32 v60, 16, v60
	v_mul_f16_e32 v50, -0.5, v50
	v_fma_f16 v60, v60, s10, v50
	v_pk_add_f16 v53, v53, v58
	v_bfi_b32 v49, s12, v62, v61
	v_pk_add_f16 v58, v38, v49
	v_add_f16_e32 v49, v59, v60
	v_pk_add_f16 v50, v52, v53 neg_lo:[0,1] neg_hi:[0,1]
	v_pk_add_f16 v52, v52, v53
	v_add_f16_sdwa v53, v59, v55 dst_sel:DWORD dst_unused:UNUSED_PAD src0_sel:WORD_1 src1_sel:DWORD
	v_alignbit_b32 v49, v49, v58, 16
	v_pack_b32_f16 v53, v53, v58
	ds_read_b32 v58, v27 offset:448
	ds_read_b32 v63, v25 offset:704
	s_waitcnt lgkmcnt(0)
	s_barrier
	ds_write2_b64 v40, v[52:53], v[49:50] offset1:1
	v_pack_b32_f16 v49, v55, v62
	v_alignbit_b32 v50, v38, v59, 16
	v_alignbit_b32 v38, v59, v38, 16
	;; [unrolled: 1-line block ×3, first 2 shown]
	v_pk_add_f16 v49, v50, v49 neg_lo:[0,1] neg_hi:[0,1]
	v_pk_add_f16 v50, v38, v52 neg_lo:[0,1] neg_hi:[0,1]
	ds_write_b64 v40, v[49:50] offset:16
	v_pk_add_f16 v40, v51, v57
	v_pk_add_f16 v49, v51, v57 neg_lo:[0,1] neg_hi:[0,1]
	v_pk_fma_f16 v40, v40, 0.5, v54 op_sel_hi:[1,0,1] neg_lo:[1,0,0] neg_hi:[1,0,0]
	v_pk_add_f16 v50, v58, v63
	v_pk_fma_f16 v50, v50, 0.5, v56 op_sel_hi:[1,0,1] neg_lo:[1,0,0] neg_hi:[1,0,0]
	v_pk_fma_f16 v53, v49, s10, v40 op_sel:[0,0,1] op_sel_hi:[1,0,0] neg_lo:[1,0,0] neg_hi:[1,0,0]
	v_pk_fma_f16 v40, v49, s10, v40 op_sel:[0,0,1] op_sel_hi:[1,0,0]
	v_pk_add_f16 v49, v58, v63 neg_lo:[0,1] neg_hi:[0,1]
	v_pk_fma_f16 v52, v49, s10, v50 op_sel:[0,0,1] op_sel_hi:[1,0,0]
	v_pk_fma_f16 v49, v49, s10, v50 op_sel:[0,0,1] op_sel_hi:[1,0,0] neg_lo:[1,0,0] neg_hi:[1,0,0]
	v_pk_add_f16 v38, v54, v51
	v_lshrrev_b32_e32 v50, 16, v49
	v_mul_f16_e32 v54, 0xbaee, v52
	v_fma_f16 v54, v50, 0.5, v54
	v_pk_mul_f16 v50, v49, s10 op_sel_hi:[1,0]
	v_pk_add_f16 v51, v56, v58
	v_pk_fma_f16 v55, v52, s0, v50 op_sel:[0,0,1] op_sel_hi:[1,1,0]
	v_pk_fma_f16 v56, v52, s0, v50 op_sel:[0,0,1] op_sel_hi:[1,1,0] neg_lo:[0,0,1] neg_hi:[0,0,1]
	v_lshrrev_b32_e32 v50, 16, v52
	v_mul_f16_e32 v49, -0.5, v49
	v_pk_add_f16 v38, v38, v57
	v_pk_add_f16 v51, v51, v63
	v_fma_f16 v57, v50, s10, v49
	v_bfi_b32 v49, s12, v55, v56
	v_pk_add_f16 v52, v40, v49
	v_add_f16_e32 v49, v53, v57
	v_pk_add_f16 v50, v38, v51 neg_lo:[0,1] neg_hi:[0,1]
	v_pk_add_f16 v51, v38, v51
	v_add_f16_sdwa v38, v53, v54 dst_sel:DWORD dst_unused:UNUSED_PAD src0_sel:WORD_1 src1_sel:DWORD
	v_alignbit_b32 v49, v49, v52, 16
	v_pack_b32_f16 v52, v38, v52
	ds_write2_b64 v39, v[51:52], v[49:50] offset1:1
	v_pack_b32_f16 v38, v54, v55
	v_alignbit_b32 v49, v40, v53, 16
	v_alignbit_b32 v40, v53, v40, 16
	;; [unrolled: 1-line block ×3, first 2 shown]
	v_pk_add_f16 v49, v49, v38 neg_lo:[0,1] neg_hi:[0,1]
	v_pk_add_f16 v50, v40, v50 neg_lo:[0,1] neg_hi:[0,1]
	ds_write_b64 v39, v[49:50] offset:16
	s_waitcnt lgkmcnt(0)
	s_barrier
	ds_read2_b32 v[38:39], v27 offset0:64 offset1:80
	s_movk_i32 s10, 0x40f
	s_waitcnt lgkmcnt(0)
	v_lshrrev_b32_e32 v40, 16, v38
	v_mul_f16_sdwa v49, v6, v38 dst_sel:DWORD dst_unused:UNUSED_PAD src0_sel:WORD_1 src1_sel:DWORD
	v_fma_f16 v51, v6, v40, -v49
	ds_read2_b32 v[49:50], v27 offset0:96 offset1:112
	v_mul_f16_sdwa v40, v6, v40 dst_sel:DWORD dst_unused:UNUSED_PAD src0_sel:WORD_1 src1_sel:DWORD
	v_fma_f16 v38, v6, v38, v40
	s_waitcnt lgkmcnt(0)
	v_lshrrev_b32_e32 v6, 16, v50
	v_mul_f16_sdwa v40, v7, v50 dst_sel:DWORD dst_unused:UNUSED_PAD src0_sel:WORD_1 src1_sel:DWORD
	v_fma_f16 v40, v7, v6, -v40
	v_mul_f16_sdwa v6, v7, v6 dst_sel:DWORD dst_unused:UNUSED_PAD src0_sel:WORD_1 src1_sel:DWORD
	v_fma_f16 v50, v7, v50, v6
	ds_read2_b32 v[6:7], v27 offset0:160 offset1:176
	s_waitcnt lgkmcnt(0)
	v_lshrrev_b32_e32 v52, 16, v6
	v_mul_f16_sdwa v53, v8, v6 dst_sel:DWORD dst_unused:UNUSED_PAD src0_sel:WORD_1 src1_sel:DWORD
	v_fma_f16 v53, v8, v52, -v53
	v_mul_f16_sdwa v52, v8, v52 dst_sel:DWORD dst_unused:UNUSED_PAD src0_sel:WORD_1 src1_sel:DWORD
	v_fma_f16 v8, v8, v6, v52
	v_lshrrev_b32_e32 v6, 16, v39
	v_mul_f16_sdwa v52, v9, v6 dst_sel:DWORD dst_unused:UNUSED_PAD src0_sel:WORD_1 src1_sel:DWORD
	v_fma_f16 v52, v9, v39, v52
	v_mul_f16_sdwa v39, v9, v39 dst_sel:DWORD dst_unused:UNUSED_PAD src0_sel:WORD_1 src1_sel:DWORD
	v_fma_f16 v9, v9, v6, -v39
	v_lshrrev_b32_e32 v6, 16, v7
	v_mul_f16_sdwa v39, v11, v6 dst_sel:DWORD dst_unused:UNUSED_PAD src0_sel:WORD_1 src1_sel:DWORD
	v_fma_f16 v39, v11, v7, v39
	v_mul_f16_sdwa v7, v11, v7 dst_sel:DWORD dst_unused:UNUSED_PAD src0_sel:WORD_1 src1_sel:DWORD
	v_fma_f16 v11, v11, v6, -v7
	ds_read2_b32 v[6:7], v27 offset0:128 offset1:144
	v_sub_f16_e32 v8, v38, v8
	v_fma_f16 v38, v38, 2.0, -v8
	s_waitcnt lgkmcnt(0)
	v_lshrrev_b32_e32 v54, 16, v6
	v_mul_f16_sdwa v55, v10, v6 dst_sel:DWORD dst_unused:UNUSED_PAD src0_sel:WORD_1 src1_sel:DWORD
	v_fma_f16 v55, v10, v54, -v55
	v_mul_f16_sdwa v54, v10, v54 dst_sel:DWORD dst_unused:UNUSED_PAD src0_sel:WORD_1 src1_sel:DWORD
	v_fma_f16 v10, v10, v6, v54
	v_lshrrev_b32_e32 v6, 16, v49
	v_mul_f16_sdwa v54, v1, v6 dst_sel:DWORD dst_unused:UNUSED_PAD src0_sel:WORD_1 src1_sel:DWORD
	v_fma_f16 v54, v1, v49, v54
	v_mul_f16_sdwa v49, v1, v49 dst_sel:DWORD dst_unused:UNUSED_PAD src0_sel:WORD_1 src1_sel:DWORD
	v_fma_f16 v49, v1, v6, -v49
	v_lshrrev_b32_e32 v1, 16, v7
	v_mul_f16_sdwa v6, v2, v1 dst_sel:DWORD dst_unused:UNUSED_PAD src0_sel:WORD_1 src1_sel:DWORD
	v_fma_f16 v56, v2, v7, v6
	v_mul_f16_sdwa v6, v2, v7 dst_sel:DWORD dst_unused:UNUSED_PAD src0_sel:WORD_1 src1_sel:DWORD
	v_fma_f16 v57, v2, v1, -v6
	ds_read2_b32 v[1:2], v27 offset0:32 offset1:48
	s_waitcnt lgkmcnt(0)
	v_lshrrev_b32_e32 v6, 16, v2
	v_mul_f16_sdwa v7, v0, v2 dst_sel:DWORD dst_unused:UNUSED_PAD src0_sel:WORD_1 src1_sel:DWORD
	v_fma_f16 v58, v0, v6, -v7
	v_mul_f16_sdwa v6, v0, v6 dst_sel:DWORD dst_unused:UNUSED_PAD src0_sel:WORD_1 src1_sel:DWORD
	v_fma_f16 v0, v0, v2, v6
	ds_read2_b32 v[6:7], v27 offset1:16
	v_sub_f16_e32 v56, v0, v56
	v_sub_f16_e32 v57, v58, v57
	v_fma_f16 v0, v0, 2.0, -v56
	v_fma_f16 v58, v58, 2.0, -v57
	s_waitcnt lgkmcnt(0)
	v_sub_f16_e32 v2, v6, v54
	v_lshrrev_b32_e32 v54, 16, v6
	v_sub_f16_e32 v49, v54, v49
	v_fma_f16 v54, v54, 2.0, -v49
	v_fma_f16 v6, v6, 2.0, -v2
	v_sub_f16_e32 v0, v6, v0
	v_sub_f16_e32 v58, v54, v58
	v_fma_f16 v6, v6, 2.0, -v0
	v_fma_f16 v54, v54, 2.0, -v58
	v_pack_b32_f16 v6, v6, v54
	v_add_f16_e32 v54, v2, v57
	v_sub_f16_e32 v56, v49, v56
	v_fma_f16 v2, v2, 2.0, -v54
	v_fma_f16 v49, v49, 2.0, -v56
	v_pack_b32_f16 v2, v2, v49
	s_barrier
	ds_write2_b32 v41, v6, v2 offset1:6
	v_pack_b32_f16 v0, v0, v58
	v_pack_b32_f16 v2, v54, v56
	ds_write2_b32 v41, v0, v2 offset0:12 offset1:18
	v_sub_f16_e32 v0, v7, v50
	v_lshrrev_b32_e32 v2, 16, v7
	v_fma_f16 v6, v7, 2.0, -v0
	v_sub_f16_e32 v7, v2, v40
	v_sub_f16_e32 v40, v51, v53
	v_fma_f16 v2, v2, 2.0, -v7
	v_fma_f16 v41, v51, 2.0, -v40
	v_sub_f16_e32 v38, v6, v38
	v_sub_f16_e32 v41, v2, v41
	v_fma_f16 v6, v6, 2.0, -v38
	v_fma_f16 v2, v2, 2.0, -v41
	v_pack_b32_f16 v2, v6, v2
	v_add_f16_e32 v6, v0, v40
	v_sub_f16_e32 v8, v7, v8
	v_fma_f16 v0, v0, 2.0, -v6
	v_fma_f16 v7, v7, 2.0, -v8
	v_pack_b32_f16 v0, v0, v7
	ds_write2_b32 v42, v2, v0 offset1:6
	v_pack_b32_f16 v0, v38, v41
	v_pack_b32_f16 v2, v6, v8
	ds_write2_b32 v42, v0, v2 offset0:12 offset1:18
	v_lshrrev_b32_e32 v2, 16, v1
	v_sub_f16_e32 v0, v1, v10
	v_sub_f16_e32 v6, v2, v55
	;; [unrolled: 1-line block ×4, first 2 shown]
	v_fma_f16 v1, v1, 2.0, -v0
	v_fma_f16 v2, v2, 2.0, -v6
	;; [unrolled: 1-line block ×4, first 2 shown]
	v_sub_f16_e32 v10, v1, v10
	v_sub_f16_e32 v9, v2, v9
	v_fma_f16 v1, v1, 2.0, -v10
	v_fma_f16 v2, v2, 2.0, -v9
	v_pack_b32_f16 v1, v1, v2
	v_add_f16_e32 v2, v0, v8
	v_sub_f16_e32 v7, v6, v7
	v_fma_f16 v0, v0, 2.0, -v2
	v_fma_f16 v6, v6, 2.0, -v7
	v_pack_b32_f16 v0, v0, v6
	ds_write2_b32 v43, v1, v0 offset1:6
	v_pack_b32_f16 v0, v10, v9
	v_pack_b32_f16 v1, v2, v7
	ds_write2_b32 v43, v0, v1 offset0:12 offset1:18
	s_waitcnt lgkmcnt(0)
	s_barrier
	ds_read2_b32 v[0:1], v27 offset0:64 offset1:80
	ds_read2_b32 v[6:7], v27 offset0:96 offset1:112
	s_waitcnt lgkmcnt(1)
	v_lshrrev_b32_e32 v2, 16, v0
	v_mul_f16_sdwa v8, v12, v2 dst_sel:DWORD dst_unused:UNUSED_PAD src0_sel:WORD_1 src1_sel:DWORD
	v_fma_f16 v11, v12, v0, v8
	ds_read2_b32 v[8:9], v27 offset0:160 offset1:176
	v_mul_f16_sdwa v0, v12, v0 dst_sel:DWORD dst_unused:UNUSED_PAD src0_sel:WORD_1 src1_sel:DWORD
	s_waitcnt lgkmcnt(1)
	v_lshrrev_b32_e32 v10, 16, v7
	v_fma_f16 v2, v12, v2, -v0
	v_mul_f16_sdwa v0, v13, v7 dst_sel:DWORD dst_unused:UNUSED_PAD src0_sel:WORD_1 src1_sel:DWORD
	v_fma_f16 v12, v13, v10, -v0
	v_mul_f16_sdwa v0, v13, v10 dst_sel:DWORD dst_unused:UNUSED_PAD src0_sel:WORD_1 src1_sel:DWORD
	v_fma_f16 v10, v13, v7, v0
	s_waitcnt lgkmcnt(0)
	v_lshrrev_b32_e32 v0, 16, v8
	v_mul_f16_sdwa v7, v14, v8 dst_sel:DWORD dst_unused:UNUSED_PAD src0_sel:WORD_1 src1_sel:DWORD
	v_fma_f16 v13, v14, v0, -v7
	v_mul_f16_sdwa v0, v14, v0 dst_sel:DWORD dst_unused:UNUSED_PAD src0_sel:WORD_1 src1_sel:DWORD
	v_fma_f16 v8, v14, v8, v0
	v_lshrrev_b32_e32 v0, 16, v1
	v_mul_f16_sdwa v7, v15, v0 dst_sel:DWORD dst_unused:UNUSED_PAD src0_sel:WORD_1 src1_sel:DWORD
	v_fma_f16 v14, v15, v1, v7
	v_mul_f16_sdwa v1, v15, v1 dst_sel:DWORD dst_unused:UNUSED_PAD src0_sel:WORD_1 src1_sel:DWORD
	v_fma_f16 v15, v15, v0, -v1
	ds_read2_b32 v[0:1], v27 offset0:128 offset1:144
	v_lshrrev_b32_e32 v7, 16, v9
	v_mul_f16_sdwa v38, v17, v7 dst_sel:DWORD dst_unused:UNUSED_PAD src0_sel:WORD_1 src1_sel:DWORD
	v_fma_f16 v38, v17, v9, v38
	v_mul_f16_sdwa v9, v17, v9 dst_sel:DWORD dst_unused:UNUSED_PAD src0_sel:WORD_1 src1_sel:DWORD
	v_fma_f16 v9, v17, v7, -v9
	s_waitcnt lgkmcnt(0)
	v_lshrrev_b32_e32 v7, 16, v0
	v_mul_f16_sdwa v17, v16, v0 dst_sel:DWORD dst_unused:UNUSED_PAD src0_sel:WORD_1 src1_sel:DWORD
	v_fma_f16 v17, v16, v7, -v17
	v_mul_f16_sdwa v7, v16, v7 dst_sel:DWORD dst_unused:UNUSED_PAD src0_sel:WORD_1 src1_sel:DWORD
	v_fma_f16 v16, v16, v0, v7
	v_lshrrev_b32_e32 v0, 16, v6
	v_mul_f16_sdwa v7, v4, v0 dst_sel:DWORD dst_unused:UNUSED_PAD src0_sel:WORD_1 src1_sel:DWORD
	v_fma_f16 v39, v4, v6, v7
	v_mul_f16_sdwa v6, v4, v6 dst_sel:DWORD dst_unused:UNUSED_PAD src0_sel:WORD_1 src1_sel:DWORD
	v_fma_f16 v4, v4, v0, -v6
	v_lshrrev_b32_e32 v0, 16, v1
	ds_read2_b32 v[6:7], v27 offset0:32 offset1:48
	v_mul_f16_sdwa v40, v5, v0 dst_sel:DWORD dst_unused:UNUSED_PAD src0_sel:WORD_1 src1_sel:DWORD
	v_fma_f16 v40, v5, v1, v40
	v_mul_f16_sdwa v1, v5, v1 dst_sel:DWORD dst_unused:UNUSED_PAD src0_sel:WORD_1 src1_sel:DWORD
	v_fma_f16 v5, v5, v0, -v1
	ds_read2_b32 v[0:1], v27 offset1:16
	s_waitcnt lgkmcnt(1)
	v_lshrrev_b32_e32 v41, 16, v7
	v_mul_f16_sdwa v42, v3, v7 dst_sel:DWORD dst_unused:UNUSED_PAD src0_sel:WORD_1 src1_sel:DWORD
	v_fma_f16 v42, v3, v41, -v42
	v_mul_f16_sdwa v41, v3, v41 dst_sel:DWORD dst_unused:UNUSED_PAD src0_sel:WORD_1 src1_sel:DWORD
	v_fma_f16 v3, v3, v7, v41
	s_waitcnt lgkmcnt(0)
	v_sub_f16_e32 v7, v0, v39
	v_lshrrev_b32_e32 v39, 16, v0
	v_sub_f16_e32 v4, v39, v4
	v_sub_f16_e32 v40, v3, v40
	v_sub_f16_e32 v5, v42, v5
	v_fma_f16 v39, v39, 2.0, -v4
	v_fma_f16 v3, v3, 2.0, -v40
	v_fma_f16 v41, v42, 2.0, -v5
	v_fma_f16 v0, v0, 2.0, -v7
	v_sub_f16_e32 v3, v0, v3
	v_sub_f16_e32 v41, v39, v41
	v_fma_f16 v0, v0, 2.0, -v3
	v_fma_f16 v39, v39, 2.0, -v41
	v_pack_b32_f16 v0, v0, v39
	v_add_f16_e32 v5, v7, v5
	v_sub_f16_e32 v39, v4, v40
	v_fma_f16 v7, v7, 2.0, -v5
	v_fma_f16 v4, v4, 2.0, -v39
	v_pack_b32_f16 v4, v7, v4
	s_barrier
	ds_write2_b32 v27, v0, v4 offset1:24
	v_pack_b32_f16 v0, v3, v41
	v_pack_b32_f16 v3, v5, v39
	ds_write2_b32 v27, v0, v3 offset0:48 offset1:72
	v_lshrrev_b32_e32 v0, 16, v1
	v_sub_f16_e32 v3, v1, v10
	v_sub_f16_e32 v5, v0, v12
	;; [unrolled: 1-line block ×4, first 2 shown]
	v_fma_f16 v1, v1, 2.0, -v3
	v_lshrrev_b32_e32 v4, 16, v6
	v_fma_f16 v0, v0, 2.0, -v5
	v_fma_f16 v10, v11, 2.0, -v7
	;; [unrolled: 1-line block ×3, first 2 shown]
	v_sub_f16_e32 v10, v1, v10
	v_sub_f16_e32 v2, v0, v2
	v_add_f16_e32 v8, v3, v8
	v_sub_f16_e32 v7, v5, v7
	v_sub_f16_e32 v11, v6, v16
	;; [unrolled: 1-line block ×5, first 2 shown]
	v_fma_f16 v1, v1, 2.0, -v10
	v_fma_f16 v0, v0, 2.0, -v2
	;; [unrolled: 1-line block ×8, first 2 shown]
	v_sub_f16_e32 v14, v6, v14
	v_sub_f16_e32 v15, v4, v15
	v_add_f16_e32 v9, v11, v9
	v_sub_f16_e32 v13, v12, v13
	v_pack_b32_f16 v0, v1, v0
	v_pack_b32_f16 v1, v3, v5
	v_fma_f16 v6, v6, 2.0, -v14
	v_fma_f16 v4, v4, 2.0, -v15
	;; [unrolled: 1-line block ×4, first 2 shown]
	ds_write2_b32 v20, v0, v1 offset1:24
	v_pack_b32_f16 v0, v10, v2
	v_pack_b32_f16 v1, v8, v7
	ds_write2_b32 v20, v0, v1 offset0:48 offset1:72
	v_pack_b32_f16 v0, v6, v4
	v_pack_b32_f16 v1, v11, v12
	ds_write2_b32 v27, v0, v1 offset0:104 offset1:128
	;; [unrolled: 3-line block ×3, first 2 shown]
	s_waitcnt lgkmcnt(0)
	s_barrier
	ds_read2_b32 v[0:1], v27 offset1:16
	ds_read2_b32 v[2:3], v27 offset0:96 offset1:112
	ds_read2_b32 v[4:5], v27 offset0:32 offset1:48
	;; [unrolled: 1-line block ×4, first 2 shown]
	s_waitcnt lgkmcnt(4)
	v_lshrrev_b32_e32 v10, 16, v0
	s_waitcnt lgkmcnt(3)
	v_lshrrev_b32_e32 v11, 16, v2
	v_mul_f16_sdwa v17, v21, v2 dst_sel:DWORD dst_unused:UNUSED_PAD src0_sel:WORD_1 src1_sel:DWORD
	v_lshrrev_b32_e32 v13, 16, v3
	v_fma_f16 v17, v21, v11, -v17
	v_mul_f16_sdwa v11, v21, v11 dst_sel:DWORD dst_unused:UNUSED_PAD src0_sel:WORD_1 src1_sel:DWORD
	v_fma_f16 v11, v21, v2, v11
	v_mul_f16_sdwa v2, v44, v13 dst_sel:DWORD dst_unused:UNUSED_PAD src0_sel:WORD_1 src1_sel:DWORD
	v_fma_f16 v20, v44, v3, v2
	v_mul_f16_sdwa v2, v44, v3 dst_sel:DWORD dst_unused:UNUSED_PAD src0_sel:WORD_1 src1_sel:DWORD
	v_fma_f16 v13, v44, v13, -v2
	ds_read2_b32 v[2:3], v27 offset0:160 offset1:176
	s_waitcnt lgkmcnt(2)
	v_lshrrev_b32_e32 v15, 16, v6
	v_mul_f16_sdwa v21, v45, v6 dst_sel:DWORD dst_unused:UNUSED_PAD src0_sel:WORD_1 src1_sel:DWORD
	v_lshrrev_b32_e32 v12, 16, v1
	v_lshrrev_b32_e32 v16, 16, v7
	v_fma_f16 v21, v45, v15, -v21
	v_mul_f16_sdwa v15, v45, v15 dst_sel:DWORD dst_unused:UNUSED_PAD src0_sel:WORD_1 src1_sel:DWORD
	v_fma_f16 v6, v45, v6, v15
	v_mul_f16_sdwa v15, v46, v16 dst_sel:DWORD dst_unused:UNUSED_PAD src0_sel:WORD_1 src1_sel:DWORD
	v_sub_f16_e32 v11, v0, v11
	v_sub_f16_e32 v20, v1, v20
	v_sub_f16_e32 v17, v10, v17
	v_sub_f16_e32 v13, v12, v13
	v_lshrrev_b32_e32 v14, 16, v4
	v_fma_f16 v15, v46, v7, v15
	v_mul_f16_sdwa v7, v46, v7 dst_sel:DWORD dst_unused:UNUSED_PAD src0_sel:WORD_1 src1_sel:DWORD
	s_waitcnt lgkmcnt(0)
	v_lshrrev_b32_e32 v38, 16, v2
	v_mul_f16_sdwa v39, v47, v2 dst_sel:DWORD dst_unused:UNUSED_PAD src0_sel:WORD_1 src1_sel:DWORD
	v_fma_f16 v0, v0, 2.0, -v11
	v_fma_f16 v1, v1, 2.0, -v20
	;; [unrolled: 1-line block ×4, first 2 shown]
	v_fma_f16 v7, v46, v16, -v7
	v_lshrrev_b32_e32 v16, 16, v3
	v_fma_f16 v39, v47, v38, -v39
	v_mul_f16_sdwa v38, v47, v38 dst_sel:DWORD dst_unused:UNUSED_PAD src0_sel:WORD_1 src1_sel:DWORD
	v_sub_f16_e32 v6, v4, v6
	v_sub_f16_e32 v21, v14, v21
	v_pack_b32_f16 v0, v0, v10
	v_pack_b32_f16 v10, v11, v17
	;; [unrolled: 1-line block ×3, first 2 shown]
	v_fma_f16 v2, v47, v2, v38
	v_mul_f16_sdwa v38, v48, v16 dst_sel:DWORD dst_unused:UNUSED_PAD src0_sel:WORD_1 src1_sel:DWORD
	v_lshrrev_b32_e32 v40, 16, v5
	v_fma_f16 v4, v4, 2.0, -v6
	v_fma_f16 v14, v14, 2.0, -v21
	ds_write_b32 v27, v10 offset:384
	ds_write2_b32 v27, v0, v1 offset1:16
	v_pack_b32_f16 v0, v20, v13
	v_fma_f16 v38, v48, v3, v38
	v_mul_f16_sdwa v3, v48, v3 dst_sel:DWORD dst_unused:UNUSED_PAD src0_sel:WORD_1 src1_sel:DWORD
	v_sub_f16_e32 v15, v5, v15
	v_sub_f16_e32 v7, v40, v7
	ds_write_b32 v27, v0 offset:448
	v_pack_b32_f16 v0, v4, v14
	v_fma_f16 v3, v48, v16, -v3
	v_lshrrev_b32_e32 v16, 16, v8
	v_fma_f16 v5, v5, 2.0, -v15
	v_lshrrev_b32_e32 v41, 16, v9
	v_fma_f16 v40, v40, 2.0, -v7
	ds_write_b32 v27, v0 offset:128
	v_pack_b32_f16 v0, v6, v21
	v_sub_f16_e32 v2, v8, v2
	v_sub_f16_e32 v38, v9, v38
	;; [unrolled: 1-line block ×4, first 2 shown]
	ds_write_b32 v25, v0 offset:512
	v_pack_b32_f16 v0, v5, v40
	v_fma_f16 v8, v8, 2.0, -v2
	v_fma_f16 v9, v9, 2.0, -v38
	;; [unrolled: 1-line block ×4, first 2 shown]
	ds_write_b32 v27, v0 offset:192
	v_pack_b32_f16 v0, v15, v7
	ds_write_b32 v25, v0 offset:576
	v_pack_b32_f16 v0, v8, v16
	v_pack_b32_f16 v1, v9, v41
	ds_write_b32 v27, v0 offset:256
	v_pack_b32_f16 v0, v2, v39
	ds_write_b32 v25, v1 offset:320
	v_pack_b32_f16 v1, v38, v3
	ds_write2_b32 v25, v0, v1 offset0:160 offset1:176
	s_waitcnt lgkmcnt(0)
	s_barrier
	ds_read2_b32 v[0:1], v27 offset1:16
	v_mov_b32_e32 v12, s5
	s_waitcnt lgkmcnt(0)
	v_lshrrev_b32_e32 v4, 16, v0
	v_mul_f16_sdwa v2, v37, v4 dst_sel:DWORD dst_unused:UNUSED_PAD src0_sel:WORD_1 src1_sel:DWORD
	v_fma_f16 v2, v37, v0, v2
	v_cvt_f32_f16_e32 v2, v2
	v_mul_f16_sdwa v0, v37, v0 dst_sel:DWORD dst_unused:UNUSED_PAD src0_sel:WORD_1 src1_sel:DWORD
	v_fma_f16 v0, v37, v4, -v0
	v_cvt_f32_f16_e32 v4, v0
	v_cvt_f64_f32_e32 v[2:3], v2
	v_mov_b32_e32 v0, 0x7c00
	v_mul_f64 v[2:3], v[2:3], s[2:3]
	v_and_or_b32 v2, v3, s6, v2
	v_cmp_ne_u32_e32 vcc, 0, v2
	v_cndmask_b32_e64 v2, 0, 1, vcc
	v_lshrrev_b32_e32 v5, 8, v3
	v_bfe_u32 v6, v3, 20, 11
	v_and_or_b32 v2, v5, s7, v2
	v_sub_u32_e32 v7, 0x3f1, v6
	v_or_b32_e32 v5, 0x1000, v2
	v_med3_i32 v7, v7, 0, 13
	v_lshrrev_b32_e32 v8, v7, v5
	v_lshlrev_b32_e32 v7, v7, v8
	v_cmp_ne_u32_e32 vcc, v7, v5
	v_cndmask_b32_e64 v5, 0, 1, vcc
	v_add_u32_e32 v6, 0xfffffc10, v6
	v_or_b32_e32 v5, v8, v5
	v_lshl_or_b32 v7, v6, 12, v2
	v_cmp_gt_i32_e32 vcc, 1, v6
	v_cndmask_b32_e32 v5, v7, v5, vcc
	v_and_b32_e32 v7, 7, v5
	v_cmp_lt_i32_e32 vcc, 5, v7
	v_cmp_eq_u32_e64 s[0:1], 3, v7
	v_lshrrev_b32_e32 v5, 2, v5
	s_or_b64 vcc, s[0:1], vcc
	v_addc_co_u32_e32 v7, vcc, 0, v5, vcc
	v_cvt_f64_f32_e32 v[4:5], v4
	v_cmp_gt_i32_e32 vcc, 31, v6
	v_cndmask_b32_e32 v7, v0, v7, vcc
	v_cmp_ne_u32_e32 vcc, 0, v2
	v_mul_f64 v[4:5], v[4:5], s[2:3]
	v_cndmask_b32_e64 v2, 0, 1, vcc
	v_lshl_or_b32 v2, v2, 9, v0
	v_cmp_eq_u32_e32 vcc, s10, v6
	v_cndmask_b32_e32 v2, v7, v2, vcc
	v_lshrrev_b32_e32 v3, 16, v3
	v_and_or_b32 v8, v3, s11, v2
	v_and_b32_e32 v8, 0xffff, v8
	v_and_or_b32 v2, v5, s6, v4
	v_cmp_ne_u32_e32 vcc, 0, v2
	v_cndmask_b32_e64 v2, 0, 1, vcc
	v_lshrrev_b32_e32 v3, 8, v5
	v_bfe_u32 v4, v5, 20, 11
	v_and_or_b32 v2, v3, s7, v2
	v_sub_u32_e32 v6, 0x3f1, v4
	v_or_b32_e32 v3, 0x1000, v2
	v_med3_i32 v6, v6, 0, 13
	v_lshrrev_b32_e32 v7, v6, v3
	v_lshlrev_b32_e32 v6, v6, v7
	v_cmp_ne_u32_e32 vcc, v6, v3
	v_cndmask_b32_e64 v3, 0, 1, vcc
	v_add_u32_e32 v4, 0xfffffc10, v4
	v_or_b32_e32 v3, v7, v3
	v_lshl_or_b32 v6, v4, 12, v2
	v_cmp_gt_i32_e32 vcc, 1, v4
	v_cndmask_b32_e32 v3, v6, v3, vcc
	v_and_b32_e32 v6, 7, v3
	v_cmp_lt_i32_e32 vcc, 5, v6
	v_cmp_eq_u32_e64 s[0:1], 3, v6
	v_lshrrev_b32_e32 v3, 2, v3
	s_or_b64 vcc, s[0:1], vcc
	v_addc_co_u32_e32 v3, vcc, 0, v3, vcc
	v_cmp_gt_i32_e32 vcc, 31, v4
	v_cndmask_b32_e32 v3, v0, v3, vcc
	v_cmp_ne_u32_e32 vcc, 0, v2
	v_cndmask_b32_e64 v2, 0, 1, vcc
	v_lshl_or_b32 v2, v2, 9, v0
	v_cmp_eq_u32_e32 vcc, s10, v4
	v_mad_u64_u32 v[6:7], s[0:1], s8, v35, 0
	v_cndmask_b32_e32 v9, v3, v2, vcc
	ds_read2_b32 v[2:3], v27 offset0:32 offset1:48
	v_mov_b32_e32 v4, v7
	v_lshrrev_b32_e32 v10, 16, v5
	v_mad_u64_u32 v[4:5], s[0:1], s9, v35, v[4:5]
	s_waitcnt lgkmcnt(0)
	v_lshrrev_b32_e32 v11, 16, v2
	v_mul_f16_sdwa v5, v36, v11 dst_sel:DWORD dst_unused:UNUSED_PAD src0_sel:WORD_1 src1_sel:DWORD
	v_fma_f16 v5, v36, v2, v5
	v_cvt_f32_f16_e32 v5, v5
	v_mov_b32_e32 v7, v4
	v_and_or_b32 v9, v10, s11, v9
	v_lshl_or_b32 v10, v9, 16, v8
	v_cvt_f64_f32_e32 v[4:5], v5
	v_lshlrev_b64 v[8:9], 2, v[18:19]
	v_lshlrev_b64 v[6:7], 2, v[6:7]
	v_add_co_u32_e32 v8, vcc, s4, v8
	v_mul_f64 v[4:5], v[4:5], s[2:3]
	v_addc_co_u32_e32 v9, vcc, v12, v9, vcc
	v_add_co_u32_e32 v6, vcc, v8, v6
	v_addc_co_u32_e32 v7, vcc, v9, v7, vcc
	global_store_dword v[6:7], v10, off
	v_and_or_b32 v4, v5, s6, v4
	v_cmp_ne_u32_e32 vcc, 0, v4
	v_cndmask_b32_e64 v4, 0, 1, vcc
	v_lshrrev_b32_e32 v8, 8, v5
	v_bfe_u32 v9, v5, 20, 11
	v_and_or_b32 v4, v8, s7, v4
	v_sub_u32_e32 v10, 0x3f1, v9
	v_or_b32_e32 v8, 0x1000, v4
	v_med3_i32 v10, v10, 0, 13
	v_lshrrev_b32_e32 v12, v10, v8
	v_lshlrev_b32_e32 v10, v10, v12
	v_mul_f16_sdwa v2, v36, v2 dst_sel:DWORD dst_unused:UNUSED_PAD src0_sel:WORD_1 src1_sel:DWORD
	v_cmp_ne_u32_e32 vcc, v10, v8
	v_fma_f16 v2, v36, v11, -v2
	v_cndmask_b32_e64 v8, 0, 1, vcc
	v_add_u32_e32 v10, 0xfffffc10, v9
	v_cvt_f32_f16_e32 v2, v2
	v_or_b32_e32 v8, v12, v8
	v_lshl_or_b32 v9, v10, 12, v4
	v_cmp_gt_i32_e32 vcc, 1, v10
	v_cndmask_b32_e32 v8, v9, v8, vcc
	v_and_b32_e32 v9, 7, v8
	v_cmp_lt_i32_e32 vcc, 5, v9
	v_cmp_eq_u32_e64 s[0:1], 3, v9
	v_lshrrev_b32_e32 v11, 2, v8
	v_cvt_f64_f32_e32 v[8:9], v2
	s_or_b64 vcc, s[0:1], vcc
	v_addc_co_u32_e32 v2, vcc, 0, v11, vcc
	v_mul_f64 v[8:9], v[8:9], s[2:3]
	v_cmp_gt_i32_e32 vcc, 31, v10
	v_cndmask_b32_e32 v2, v0, v2, vcc
	v_cmp_ne_u32_e32 vcc, 0, v4
	v_cndmask_b32_e64 v4, 0, 1, vcc
	v_lshl_or_b32 v4, v4, 9, v0
	v_cmp_eq_u32_e32 vcc, s10, v10
	v_cndmask_b32_e32 v2, v2, v4, vcc
	v_lshrrev_b32_e32 v4, 16, v5
	v_and_or_b32 v2, v4, s11, v2
	v_and_or_b32 v4, v9, s6, v8
	v_cmp_ne_u32_e32 vcc, 0, v4
	v_cndmask_b32_e64 v4, 0, 1, vcc
	v_lshrrev_b32_e32 v5, 8, v9
	v_and_or_b32 v8, v5, s7, v4
	v_bfe_u32 v5, v9, 20, 11
	v_sub_u32_e32 v10, 0x3f1, v5
	v_or_b32_e32 v4, 0x1000, v8
	v_med3_i32 v10, v10, 0, 13
	v_lshrrev_b32_e32 v11, v10, v4
	v_lshlrev_b32_e32 v10, v10, v11
	v_cmp_ne_u32_e32 vcc, v10, v4
	v_cndmask_b32_e64 v4, 0, 1, vcc
	v_add_u32_e32 v10, 0xfffffc10, v5
	v_or_b32_e32 v4, v11, v4
	v_lshl_or_b32 v5, v10, 12, v8
	v_cmp_gt_i32_e32 vcc, 1, v10
	v_cndmask_b32_e32 v4, v5, v4, vcc
	v_and_b32_e32 v5, 7, v4
	v_cmp_lt_i32_e32 vcc, 5, v5
	v_cmp_eq_u32_e64 s[0:1], 3, v5
	v_lshrrev_b32_e32 v4, 2, v4
	s_or_b64 vcc, s[0:1], vcc
	v_addc_co_u32_e32 v11, vcc, 0, v4, vcc
	ds_read2_b32 v[4:5], v27 offset0:64 offset1:96
	v_cmp_gt_i32_e32 vcc, 31, v10
	v_cndmask_b32_e32 v11, v0, v11, vcc
	v_cmp_ne_u32_e32 vcc, 0, v8
	v_cndmask_b32_e64 v8, 0, 1, vcc
	s_waitcnt lgkmcnt(0)
	v_lshrrev_b32_e32 v12, 16, v4
	v_mul_f16_sdwa v13, v34, v12 dst_sel:DWORD dst_unused:UNUSED_PAD src0_sel:WORD_1 src1_sel:DWORD
	v_fma_f16 v13, v34, v4, v13
	v_cvt_f32_f16_e32 v13, v13
	v_lshl_or_b32 v8, v8, 9, v0
	v_cmp_eq_u32_e32 vcc, s10, v10
	v_cndmask_b32_e32 v10, v11, v8, vcc
	v_lshrrev_b32_e32 v11, 16, v9
	v_cvt_f64_f32_e32 v[8:9], v13
	v_and_or_b32 v10, v11, s11, v10
	v_and_b32_e32 v2, 0xffff, v2
	s_lshl_b64 s[4:5], s[8:9], 7
	v_mul_f64 v[8:9], v[8:9], s[2:3]
	v_lshl_or_b32 v10, v10, 16, v2
	v_mov_b32_e32 v2, s5
	v_add_co_u32_e32 v6, vcc, s4, v6
	v_addc_co_u32_e32 v7, vcc, v7, v2, vcc
	global_store_dword v[6:7], v10, off
	v_and_or_b32 v8, v9, s6, v8
	v_cmp_ne_u32_e32 vcc, 0, v8
	v_cndmask_b32_e64 v8, 0, 1, vcc
	v_lshrrev_b32_e32 v10, 8, v9
	v_bfe_u32 v11, v9, 20, 11
	v_and_or_b32 v8, v10, s7, v8
	v_sub_u32_e32 v13, 0x3f1, v11
	v_or_b32_e32 v10, 0x1000, v8
	v_med3_i32 v13, v13, 0, 13
	v_lshrrev_b32_e32 v14, v13, v10
	v_lshlrev_b32_e32 v13, v13, v14
	v_mul_f16_sdwa v4, v34, v4 dst_sel:DWORD dst_unused:UNUSED_PAD src0_sel:WORD_1 src1_sel:DWORD
	v_cmp_ne_u32_e32 vcc, v13, v10
	v_fma_f16 v4, v34, v12, -v4
	v_cndmask_b32_e64 v10, 0, 1, vcc
	v_add_u32_e32 v13, 0xfffffc10, v11
	v_cvt_f32_f16_e32 v4, v4
	v_or_b32_e32 v10, v14, v10
	v_lshl_or_b32 v11, v13, 12, v8
	v_cmp_gt_i32_e32 vcc, 1, v13
	v_cndmask_b32_e32 v10, v11, v10, vcc
	v_and_b32_e32 v11, 7, v10
	v_cmp_lt_i32_e32 vcc, 5, v11
	v_cmp_eq_u32_e64 s[0:1], 3, v11
	v_lshrrev_b32_e32 v12, 2, v10
	v_cvt_f64_f32_e32 v[10:11], v4
	s_or_b64 vcc, s[0:1], vcc
	v_addc_co_u32_e32 v4, vcc, 0, v12, vcc
	v_mul_f64 v[10:11], v[10:11], s[2:3]
	v_cmp_gt_i32_e32 vcc, 31, v13
	v_cndmask_b32_e32 v4, v0, v4, vcc
	v_cmp_ne_u32_e32 vcc, 0, v8
	v_cndmask_b32_e64 v8, 0, 1, vcc
	v_lshl_or_b32 v8, v8, 9, v0
	v_cmp_eq_u32_e32 vcc, s10, v13
	v_cndmask_b32_e32 v4, v4, v8, vcc
	v_lshrrev_b32_e32 v8, 16, v9
	v_and_or_b32 v4, v8, s11, v4
	v_and_or_b32 v8, v11, s6, v10
	v_cmp_ne_u32_e32 vcc, 0, v8
	v_cndmask_b32_e64 v8, 0, 1, vcc
	v_lshrrev_b32_e32 v9, 8, v11
	v_bfe_u32 v10, v11, 20, 11
	v_and_or_b32 v8, v9, s7, v8
	v_sub_u32_e32 v12, 0x3f1, v10
	v_or_b32_e32 v9, 0x1000, v8
	v_med3_i32 v12, v12, 0, 13
	v_lshrrev_b32_e32 v13, v12, v9
	v_lshlrev_b32_e32 v12, v12, v13
	v_cmp_ne_u32_e32 vcc, v12, v9
	v_cndmask_b32_e64 v9, 0, 1, vcc
	v_add_u32_e32 v10, 0xfffffc10, v10
	v_or_b32_e32 v9, v13, v9
	v_lshl_or_b32 v12, v10, 12, v8
	v_cmp_gt_i32_e32 vcc, 1, v10
	v_cndmask_b32_e32 v9, v12, v9, vcc
	v_and_b32_e32 v12, 7, v9
	v_cmp_lt_i32_e32 vcc, 5, v12
	v_cmp_eq_u32_e64 s[0:1], 3, v12
	v_lshrrev_b32_e32 v9, 2, v9
	s_or_b64 vcc, s[0:1], vcc
	v_addc_co_u32_e32 v9, vcc, 0, v9, vcc
	v_cmp_gt_i32_e32 vcc, 31, v10
	v_lshrrev_b32_e32 v13, 16, v5
	v_cndmask_b32_e32 v12, v0, v9, vcc
	v_mul_f16_sdwa v9, v33, v13 dst_sel:DWORD dst_unused:UNUSED_PAD src0_sel:WORD_1 src1_sel:DWORD
	v_fma_f16 v9, v33, v5, v9
	v_cvt_f32_f16_e32 v9, v9
	v_cmp_ne_u32_e32 vcc, 0, v8
	v_cndmask_b32_e64 v8, 0, 1, vcc
	v_lshl_or_b32 v14, v8, 9, v0
	v_cvt_f64_f32_e32 v[8:9], v9
	v_cmp_eq_u32_e32 vcc, s10, v10
	v_cndmask_b32_e32 v10, v12, v14, vcc
	v_lshrrev_b32_e32 v11, 16, v11
	v_mul_f64 v[8:9], v[8:9], s[2:3]
	v_and_or_b32 v10, v11, s11, v10
	v_and_b32_e32 v4, 0xffff, v4
	v_add_co_u32_e32 v6, vcc, s4, v6
	v_lshl_or_b32 v4, v10, 16, v4
	v_addc_co_u32_e32 v7, vcc, v7, v2, vcc
	global_store_dword v[6:7], v4, off
	v_and_or_b32 v4, v9, s6, v8
	v_cmp_ne_u32_e32 vcc, 0, v4
	v_cndmask_b32_e64 v4, 0, 1, vcc
	v_lshrrev_b32_e32 v8, 8, v9
	v_bfe_u32 v10, v9, 20, 11
	v_and_or_b32 v8, v8, s7, v4
	v_sub_u32_e32 v11, 0x3f1, v10
	v_or_b32_e32 v4, 0x1000, v8
	v_med3_i32 v11, v11, 0, 13
	v_lshrrev_b32_e32 v12, v11, v4
	v_lshlrev_b32_e32 v11, v11, v12
	v_mul_f16_sdwa v5, v33, v5 dst_sel:DWORD dst_unused:UNUSED_PAD src0_sel:WORD_1 src1_sel:DWORD
	v_cmp_ne_u32_e32 vcc, v11, v4
	v_fma_f16 v5, v33, v13, -v5
	v_cndmask_b32_e64 v4, 0, 1, vcc
	v_add_u32_e32 v10, 0xfffffc10, v10
	v_cvt_f32_f16_e32 v5, v5
	v_or_b32_e32 v4, v12, v4
	v_lshl_or_b32 v11, v10, 12, v8
	v_cmp_gt_i32_e32 vcc, 1, v10
	v_cndmask_b32_e32 v4, v11, v4, vcc
	v_and_b32_e32 v11, 7, v4
	v_cmp_lt_i32_e32 vcc, 5, v11
	v_cmp_eq_u32_e64 s[0:1], 3, v11
	v_lshrrev_b32_e32 v11, 2, v4
	v_cvt_f64_f32_e32 v[4:5], v5
	s_or_b64 vcc, s[0:1], vcc
	v_addc_co_u32_e32 v11, vcc, 0, v11, vcc
	v_mul_f64 v[4:5], v[4:5], s[2:3]
	v_cmp_gt_i32_e32 vcc, 31, v10
	v_cndmask_b32_e32 v11, v0, v11, vcc
	v_cmp_ne_u32_e32 vcc, 0, v8
	v_cndmask_b32_e64 v8, 0, 1, vcc
	v_lshl_or_b32 v8, v8, 9, v0
	v_cmp_eq_u32_e32 vcc, s10, v10
	v_cndmask_b32_e32 v8, v11, v8, vcc
	v_and_or_b32 v4, v5, s6, v4
	v_lshrrev_b32_e32 v9, 16, v9
	v_cmp_ne_u32_e32 vcc, 0, v4
	v_and_or_b32 v12, v9, s11, v8
	v_cndmask_b32_e64 v4, 0, 1, vcc
	v_lshrrev_b32_e32 v8, 8, v5
	v_bfe_u32 v9, v5, 20, 11
	v_and_or_b32 v4, v8, s7, v4
	v_sub_u32_e32 v10, 0x3f1, v9
	v_or_b32_e32 v8, 0x1000, v4
	v_med3_i32 v10, v10, 0, 13
	v_lshrrev_b32_e32 v11, v10, v8
	v_lshlrev_b32_e32 v10, v10, v11
	v_cmp_ne_u32_e32 vcc, v10, v8
	v_cndmask_b32_e64 v8, 0, 1, vcc
	v_add_u32_e32 v13, 0xfffffc10, v9
	v_or_b32_e32 v8, v11, v8
	v_lshl_or_b32 v9, v13, 12, v4
	v_cmp_gt_i32_e32 vcc, 1, v13
	v_cndmask_b32_e32 v8, v9, v8, vcc
	v_and_b32_e32 v9, 7, v8
	v_cmp_lt_i32_e32 vcc, 5, v9
	v_cmp_eq_u32_e64 s[0:1], 3, v9
	v_lshrrev_b32_e32 v10, 2, v8
	ds_read2_b32 v[8:9], v25 offset0:80 offset1:128
	s_or_b64 vcc, s[0:1], vcc
	v_addc_co_u32_e32 v10, vcc, 0, v10, vcc
	v_cmp_gt_i32_e32 vcc, 31, v13
	s_waitcnt lgkmcnt(0)
	v_lshrrev_b32_e32 v15, 16, v9
	v_cndmask_b32_e32 v14, v0, v10, vcc
	v_mul_f16_sdwa v10, v32, v15 dst_sel:DWORD dst_unused:UNUSED_PAD src0_sel:WORD_1 src1_sel:DWORD
	v_fma_f16 v10, v32, v9, v10
	v_cvt_f32_f16_e32 v10, v10
	v_cmp_ne_u32_e32 vcc, 0, v4
	v_cndmask_b32_e64 v4, 0, 1, vcc
	v_lshl_or_b32 v4, v4, 9, v0
	v_cvt_f64_f32_e32 v[10:11], v10
	v_cmp_eq_u32_e32 vcc, s10, v13
	v_cndmask_b32_e32 v4, v14, v4, vcc
	v_lshrrev_b32_e32 v5, 16, v5
	v_and_or_b32 v13, v5, s11, v4
	v_mul_f64 v[4:5], v[10:11], s[2:3]
	v_add_co_u32_e32 v6, vcc, s4, v6
	v_and_b32_e32 v10, 0xffff, v12
	v_addc_co_u32_e32 v7, vcc, v7, v2, vcc
	v_lshl_or_b32 v10, v13, 16, v10
	global_store_dword v[6:7], v10, off
	v_and_or_b32 v4, v5, s6, v4
	v_cmp_ne_u32_e32 vcc, 0, v4
	v_cndmask_b32_e64 v4, 0, 1, vcc
	v_lshrrev_b32_e32 v10, 8, v5
	v_bfe_u32 v11, v5, 20, 11
	v_and_or_b32 v4, v10, s7, v4
	v_sub_u32_e32 v12, 0x3f1, v11
	v_or_b32_e32 v10, 0x1000, v4
	v_med3_i32 v12, v12, 0, 13
	v_lshrrev_b32_e32 v13, v12, v10
	v_lshlrev_b32_e32 v12, v12, v13
	v_mul_f16_sdwa v9, v32, v9 dst_sel:DWORD dst_unused:UNUSED_PAD src0_sel:WORD_1 src1_sel:DWORD
	v_cmp_ne_u32_e32 vcc, v12, v10
	v_fma_f16 v9, v32, v15, -v9
	v_cndmask_b32_e64 v10, 0, 1, vcc
	v_add_u32_e32 v11, 0xfffffc10, v11
	v_cvt_f32_f16_e32 v9, v9
	v_or_b32_e32 v10, v13, v10
	v_lshl_or_b32 v12, v11, 12, v4
	v_cmp_gt_i32_e32 vcc, 1, v11
	v_cndmask_b32_e32 v10, v12, v10, vcc
	v_and_b32_e32 v12, 7, v10
	v_cmp_lt_i32_e32 vcc, 5, v12
	v_cmp_eq_u32_e64 s[0:1], 3, v12
	v_lshrrev_b32_e32 v12, 2, v10
	v_cvt_f64_f32_e32 v[9:10], v9
	s_or_b64 vcc, s[0:1], vcc
	v_addc_co_u32_e32 v12, vcc, 0, v12, vcc
	v_mul_f64 v[9:10], v[9:10], s[2:3]
	v_cmp_gt_i32_e32 vcc, 31, v11
	v_cndmask_b32_e32 v12, v0, v12, vcc
	v_cmp_ne_u32_e32 vcc, 0, v4
	v_cndmask_b32_e64 v4, 0, 1, vcc
	v_lshl_or_b32 v4, v4, 9, v0
	v_cmp_eq_u32_e32 vcc, s10, v11
	v_cndmask_b32_e32 v4, v12, v4, vcc
	v_lshrrev_b32_e32 v5, 16, v5
	v_and_or_b32 v13, v5, s11, v4
	v_and_or_b32 v4, v10, s6, v9
	v_cmp_ne_u32_e32 vcc, 0, v4
	v_cndmask_b32_e64 v4, 0, 1, vcc
	v_lshrrev_b32_e32 v5, 8, v10
	v_and_or_b32 v9, v5, s7, v4
	v_bfe_u32 v5, v10, 20, 11
	v_sub_u32_e32 v11, 0x3f1, v5
	v_or_b32_e32 v4, 0x1000, v9
	v_med3_i32 v11, v11, 0, 13
	v_lshrrev_b32_e32 v12, v11, v4
	v_lshlrev_b32_e32 v11, v11, v12
	v_cmp_ne_u32_e32 vcc, v11, v4
	v_cndmask_b32_e64 v4, 0, 1, vcc
	v_add_u32_e32 v14, 0xfffffc10, v5
	v_or_b32_e32 v4, v12, v4
	v_lshl_or_b32 v5, v14, 12, v9
	v_cmp_gt_i32_e32 vcc, 1, v14
	v_cndmask_b32_e32 v4, v5, v4, vcc
	v_and_b32_e32 v5, 7, v4
	v_cmp_lt_i32_e32 vcc, 5, v5
	v_cmp_eq_u32_e64 s[0:1], 3, v5
	v_lshrrev_b32_e32 v11, 2, v4
	ds_read2_b32 v[4:5], v25 offset0:144 offset1:160
	s_or_b64 vcc, s[0:1], vcc
	v_addc_co_u32_e32 v11, vcc, 0, v11, vcc
	v_cmp_gt_i32_e32 vcc, 31, v14
	s_waitcnt lgkmcnt(0)
	v_lshrrev_b32_e32 v16, 16, v5
	v_cndmask_b32_e32 v15, v0, v11, vcc
	v_mul_f16_sdwa v11, v31, v16 dst_sel:DWORD dst_unused:UNUSED_PAD src0_sel:WORD_1 src1_sel:DWORD
	v_fma_f16 v11, v31, v5, v11
	v_cvt_f32_f16_e32 v11, v11
	v_cmp_ne_u32_e32 vcc, 0, v9
	v_cndmask_b32_e64 v9, 0, 1, vcc
	v_lshl_or_b32 v9, v9, 9, v0
	v_cvt_f64_f32_e32 v[11:12], v11
	v_cmp_eq_u32_e32 vcc, s10, v14
	v_cndmask_b32_e32 v9, v15, v9, vcc
	v_lshrrev_b32_e32 v10, 16, v10
	v_and_or_b32 v14, v10, s11, v9
	v_mul_f64 v[9:10], v[11:12], s[2:3]
	v_add_co_u32_e32 v6, vcc, s4, v6
	v_and_b32_e32 v11, 0xffff, v13
	v_addc_co_u32_e32 v7, vcc, v7, v2, vcc
	v_lshl_or_b32 v11, v14, 16, v11
	global_store_dword v[6:7], v11, off
	v_and_or_b32 v9, v10, s6, v9
	v_cmp_ne_u32_e32 vcc, 0, v9
	v_cndmask_b32_e64 v9, 0, 1, vcc
	v_lshrrev_b32_e32 v11, 8, v10
	v_bfe_u32 v12, v10, 20, 11
	v_and_or_b32 v9, v11, s7, v9
	v_sub_u32_e32 v13, 0x3f1, v12
	v_or_b32_e32 v11, 0x1000, v9
	v_med3_i32 v13, v13, 0, 13
	v_lshrrev_b32_e32 v14, v13, v11
	v_lshlrev_b32_e32 v13, v13, v14
	v_mul_f16_sdwa v5, v31, v5 dst_sel:DWORD dst_unused:UNUSED_PAD src0_sel:WORD_1 src1_sel:DWORD
	v_cmp_ne_u32_e32 vcc, v13, v11
	v_fma_f16 v5, v31, v16, -v5
	v_cndmask_b32_e64 v11, 0, 1, vcc
	v_add_u32_e32 v13, 0xfffffc10, v12
	v_cvt_f32_f16_e32 v5, v5
	v_or_b32_e32 v11, v14, v11
	v_lshl_or_b32 v12, v13, 12, v9
	v_cmp_gt_i32_e32 vcc, 1, v13
	v_cndmask_b32_e32 v11, v12, v11, vcc
	v_and_b32_e32 v12, 7, v11
	v_cmp_lt_i32_e32 vcc, 5, v12
	v_cmp_eq_u32_e64 s[0:1], 3, v12
	v_lshrrev_b32_e32 v14, 2, v11
	v_cvt_f64_f32_e32 v[11:12], v5
	s_or_b64 vcc, s[0:1], vcc
	v_addc_co_u32_e32 v5, vcc, 0, v14, vcc
	v_mul_f64 v[11:12], v[11:12], s[2:3]
	v_cmp_gt_i32_e32 vcc, 31, v13
	v_cndmask_b32_e32 v5, v0, v5, vcc
	v_cmp_ne_u32_e32 vcc, 0, v9
	v_cndmask_b32_e64 v9, 0, 1, vcc
	v_lshl_or_b32 v9, v9, 9, v0
	v_cmp_eq_u32_e32 vcc, s10, v13
	v_cndmask_b32_e32 v5, v5, v9, vcc
	v_lshrrev_b32_e32 v9, 16, v10
	v_and_or_b32 v5, v9, s11, v5
	v_and_or_b32 v9, v12, s6, v11
	v_cmp_ne_u32_e32 vcc, 0, v9
	v_cndmask_b32_e64 v9, 0, 1, vcc
	v_lshrrev_b32_e32 v10, 8, v12
	v_bfe_u32 v11, v12, 20, 11
	v_and_or_b32 v9, v10, s7, v9
	v_sub_u32_e32 v13, 0x3f1, v11
	v_or_b32_e32 v10, 0x1000, v9
	v_med3_i32 v13, v13, 0, 13
	v_lshrrev_b32_e32 v14, v13, v10
	v_lshlrev_b32_e32 v13, v13, v14
	v_cmp_ne_u32_e32 vcc, v13, v10
	v_cndmask_b32_e64 v10, 0, 1, vcc
	v_add_u32_e32 v11, 0xfffffc10, v11
	v_or_b32_e32 v10, v14, v10
	v_lshl_or_b32 v13, v11, 12, v9
	v_cmp_gt_i32_e32 vcc, 1, v11
	v_cndmask_b32_e32 v10, v13, v10, vcc
	v_and_b32_e32 v13, 7, v10
	v_cmp_lt_i32_e32 vcc, 5, v13
	v_cmp_eq_u32_e64 s[0:1], 3, v13
	v_lshrrev_b32_e32 v10, 2, v10
	s_or_b64 vcc, s[0:1], vcc
	v_addc_co_u32_e32 v10, vcc, 0, v10, vcc
	v_cmp_gt_i32_e32 vcc, 31, v11
	v_lshrrev_b32_e32 v14, 16, v1
	v_cndmask_b32_e32 v13, v0, v10, vcc
	v_mul_f16_sdwa v10, v30, v14 dst_sel:DWORD dst_unused:UNUSED_PAD src0_sel:WORD_1 src1_sel:DWORD
	v_fma_f16 v10, v30, v1, v10
	v_cvt_f32_f16_e32 v10, v10
	v_cmp_ne_u32_e32 vcc, 0, v9
	v_cndmask_b32_e64 v9, 0, 1, vcc
	v_lshl_or_b32 v15, v9, 9, v0
	v_cvt_f64_f32_e32 v[9:10], v10
	v_cmp_eq_u32_e32 vcc, s10, v11
	v_cndmask_b32_e32 v11, v13, v15, vcc
	v_lshrrev_b32_e32 v12, 16, v12
	v_mul_f64 v[9:10], v[9:10], s[2:3]
	v_and_or_b32 v11, v12, s11, v11
	v_and_b32_e32 v5, 0xffff, v5
	v_lshl_or_b32 v11, v11, 16, v5
	v_add_co_u32_e32 v5, vcc, s4, v6
	v_addc_co_u32_e32 v6, vcc, v7, v2, vcc
	v_and_or_b32 v7, v10, s6, v9
	v_cmp_ne_u32_e32 vcc, 0, v7
	global_store_dword v[5:6], v11, off
	v_cndmask_b32_e64 v7, 0, 1, vcc
	v_lshrrev_b32_e32 v9, 8, v10
	v_bfe_u32 v11, v10, 20, 11
	v_and_or_b32 v7, v9, s7, v7
	v_sub_u32_e32 v12, 0x3f1, v11
	v_or_b32_e32 v9, 0x1000, v7
	v_med3_i32 v12, v12, 0, 13
	v_lshrrev_b32_e32 v13, v12, v9
	v_lshlrev_b32_e32 v12, v12, v13
	v_cmp_ne_u32_e32 vcc, v12, v9
	v_mul_f16_sdwa v1, v30, v1 dst_sel:DWORD dst_unused:UNUSED_PAD src0_sel:WORD_1 src1_sel:DWORD
	v_cndmask_b32_e64 v9, 0, 1, vcc
	v_fma_f16 v1, v30, v14, -v1
	v_or_b32_e32 v9, v13, v9
	v_add_u32_e32 v13, 0xfffffc10, v11
	v_cvt_f32_f16_e32 v1, v1
	v_lshl_or_b32 v11, v13, 12, v7
	v_cmp_gt_i32_e32 vcc, 1, v13
	v_cndmask_b32_e32 v9, v11, v9, vcc
	v_and_b32_e32 v11, 7, v9
	v_cmp_lt_i32_e32 vcc, 5, v11
	v_cmp_eq_u32_e64 s[0:1], 3, v11
	v_cvt_f64_f32_e32 v[11:12], v1
	v_lshrrev_b32_e32 v9, 2, v9
	s_or_b64 vcc, s[0:1], vcc
	v_addc_co_u32_e32 v1, vcc, 0, v9, vcc
	v_mul_f64 v[11:12], v[11:12], s[2:3]
	v_cmp_gt_i32_e32 vcc, 31, v13
	v_cndmask_b32_e32 v1, v0, v1, vcc
	v_cmp_ne_u32_e32 vcc, 0, v7
	v_cndmask_b32_e64 v7, 0, 1, vcc
	v_lshl_or_b32 v7, v7, 9, v0
	v_cmp_eq_u32_e32 vcc, s10, v13
	v_cndmask_b32_e32 v1, v1, v7, vcc
	v_lshrrev_b32_e32 v7, 16, v10
	v_and_or_b32 v1, v7, s11, v1
	v_and_or_b32 v7, v12, s6, v11
	v_cmp_ne_u32_e32 vcc, 0, v7
	v_cndmask_b32_e64 v7, 0, 1, vcc
	v_lshrrev_b32_e32 v9, 8, v12
	v_bfe_u32 v10, v12, 20, 11
	v_and_or_b32 v7, v9, s7, v7
	v_sub_u32_e32 v11, 0x3f1, v10
	v_or_b32_e32 v9, 0x1000, v7
	v_med3_i32 v11, v11, 0, 13
	v_lshrrev_b32_e32 v13, v11, v9
	v_lshlrev_b32_e32 v11, v11, v13
	v_cmp_ne_u32_e32 vcc, v11, v9
	v_cndmask_b32_e64 v9, 0, 1, vcc
	v_add_u32_e32 v10, 0xfffffc10, v10
	v_or_b32_e32 v9, v13, v9
	v_lshl_or_b32 v11, v10, 12, v7
	v_cmp_gt_i32_e32 vcc, 1, v10
	v_cndmask_b32_e32 v9, v11, v9, vcc
	v_and_b32_e32 v11, 7, v9
	v_cmp_lt_i32_e32 vcc, 5, v11
	v_cmp_eq_u32_e64 s[0:1], 3, v11
	v_lshrrev_b32_e32 v11, 16, v3
	v_lshrrev_b32_e32 v9, 2, v9
	s_or_b64 vcc, s[0:1], vcc
	v_mul_f16_sdwa v13, v28, v11 dst_sel:DWORD dst_unused:UNUSED_PAD src0_sel:WORD_1 src1_sel:DWORD
	v_addc_co_u32_e32 v9, vcc, 0, v9, vcc
	v_fma_f16 v13, v28, v3, v13
	v_cmp_gt_i32_e32 vcc, 31, v10
	v_cvt_f32_f16_e32 v13, v13
	v_cndmask_b32_e32 v9, v0, v9, vcc
	v_cmp_ne_u32_e32 vcc, 0, v7
	v_cndmask_b32_e64 v7, 0, 1, vcc
	v_lshl_or_b32 v7, v7, 9, v0
	v_cmp_eq_u32_e32 vcc, s10, v10
	v_cndmask_b32_e32 v7, v9, v7, vcc
	v_cvt_f64_f32_e32 v[9:10], v13
	v_mad_u64_u32 v[5:6], s[0:1], s8, v29, v[5:6]
	v_lshrrev_b32_e32 v12, 16, v12
	v_mul_f64 v[9:10], v[9:10], s[2:3]
	s_mul_i32 s0, s9, 0xfffffdc0
	v_and_or_b32 v7, v12, s11, v7
	v_and_b32_e32 v1, 0xffff, v1
	s_sub_i32 s0, s0, s8
	v_lshl_or_b32 v1, v7, 16, v1
	v_add_u32_e32 v6, s0, v6
	global_store_dword v[5:6], v1, off
	v_and_or_b32 v1, v10, s6, v9
	v_cmp_ne_u32_e32 vcc, 0, v1
	v_cndmask_b32_e64 v1, 0, 1, vcc
	v_lshrrev_b32_e32 v7, 8, v10
	v_bfe_u32 v9, v10, 20, 11
	v_and_or_b32 v1, v7, s7, v1
	v_sub_u32_e32 v12, 0x3f1, v9
	v_or_b32_e32 v7, 0x1000, v1
	v_med3_i32 v12, v12, 0, 13
	v_lshrrev_b32_e32 v13, v12, v7
	v_lshlrev_b32_e32 v12, v12, v13
	v_mul_f16_sdwa v3, v28, v3 dst_sel:DWORD dst_unused:UNUSED_PAD src0_sel:WORD_1 src1_sel:DWORD
	v_cmp_ne_u32_e32 vcc, v12, v7
	v_fma_f16 v3, v28, v11, -v3
	v_cndmask_b32_e64 v7, 0, 1, vcc
	v_add_u32_e32 v9, 0xfffffc10, v9
	v_cvt_f32_f16_e32 v3, v3
	v_or_b32_e32 v7, v13, v7
	v_lshl_or_b32 v12, v9, 12, v1
	v_cmp_gt_i32_e32 vcc, 1, v9
	v_cndmask_b32_e32 v7, v12, v7, vcc
	v_and_b32_e32 v12, 7, v7
	v_cmp_lt_i32_e32 vcc, 5, v12
	v_cmp_eq_u32_e64 s[0:1], 3, v12
	v_cvt_f64_f32_e32 v[11:12], v3
	v_lshrrev_b32_e32 v7, 2, v7
	s_or_b64 vcc, s[0:1], vcc
	v_addc_co_u32_e32 v3, vcc, 0, v7, vcc
	v_mul_f64 v[11:12], v[11:12], s[2:3]
	v_cmp_gt_i32_e32 vcc, 31, v9
	v_cndmask_b32_e32 v3, v0, v3, vcc
	v_cmp_ne_u32_e32 vcc, 0, v1
	v_cndmask_b32_e64 v1, 0, 1, vcc
	v_lshl_or_b32 v1, v1, 9, v0
	v_cmp_eq_u32_e32 vcc, s10, v9
	v_cndmask_b32_e32 v1, v3, v1, vcc
	v_lshrrev_b32_e32 v3, 16, v10
	v_and_or_b32 v1, v3, s11, v1
	v_and_or_b32 v3, v12, s6, v11
	v_cmp_ne_u32_e32 vcc, 0, v3
	v_cndmask_b32_e64 v3, 0, 1, vcc
	v_lshrrev_b32_e32 v7, 8, v12
	v_bfe_u32 v9, v12, 20, 11
	v_and_or_b32 v3, v7, s7, v3
	v_sub_u32_e32 v10, 0x3f1, v9
	v_or_b32_e32 v7, 0x1000, v3
	v_med3_i32 v10, v10, 0, 13
	v_lshrrev_b32_e32 v11, v10, v7
	v_lshlrev_b32_e32 v10, v10, v11
	v_cmp_ne_u32_e32 vcc, v10, v7
	v_cndmask_b32_e64 v7, 0, 1, vcc
	v_or_b32_e32 v7, v11, v7
	v_add_u32_e32 v11, 0xfffffc10, v9
	v_lshl_or_b32 v9, v11, 12, v3
	v_cmp_gt_i32_e32 vcc, 1, v11
	v_cndmask_b32_e32 v7, v9, v7, vcc
	v_and_b32_e32 v9, 7, v7
	v_lshrrev_b32_e32 v13, 16, v8
	v_cmp_lt_i32_e32 vcc, 5, v9
	v_cmp_eq_u32_e64 s[0:1], 3, v9
	v_mul_f16_sdwa v9, v26, v13 dst_sel:DWORD dst_unused:UNUSED_PAD src0_sel:WORD_1 src1_sel:DWORD
	v_fma_f16 v9, v26, v8, v9
	v_cvt_f32_f16_e32 v9, v9
	v_lshrrev_b32_e32 v7, 2, v7
	s_or_b64 vcc, s[0:1], vcc
	v_addc_co_u32_e32 v7, vcc, 0, v7, vcc
	v_cvt_f64_f32_e32 v[9:10], v9
	v_cmp_gt_i32_e32 vcc, 31, v11
	v_cndmask_b32_e32 v7, v0, v7, vcc
	v_cmp_ne_u32_e32 vcc, 0, v3
	v_mul_f64 v[9:10], v[9:10], s[2:3]
	v_cndmask_b32_e64 v3, 0, 1, vcc
	v_lshl_or_b32 v3, v3, 9, v0
	v_cmp_eq_u32_e32 vcc, s10, v11
	v_cndmask_b32_e32 v3, v7, v3, vcc
	v_lshrrev_b32_e32 v7, 16, v12
	v_and_or_b32 v3, v7, s11, v3
	v_and_b32_e32 v1, 0xffff, v1
	v_add_co_u32_e32 v5, vcc, s4, v5
	v_lshl_or_b32 v1, v3, 16, v1
	v_addc_co_u32_e32 v6, vcc, v6, v2, vcc
	global_store_dword v[5:6], v1, off
	v_and_or_b32 v1, v10, s6, v9
	v_cmp_ne_u32_e32 vcc, 0, v1
	v_cndmask_b32_e64 v1, 0, 1, vcc
	v_lshrrev_b32_e32 v3, 8, v10
	v_bfe_u32 v7, v10, 20, 11
	v_and_or_b32 v1, v3, s7, v1
	v_sub_u32_e32 v9, 0x3f1, v7
	v_or_b32_e32 v3, 0x1000, v1
	v_med3_i32 v9, v9, 0, 13
	v_lshrrev_b32_e32 v11, v9, v3
	v_lshlrev_b32_e32 v9, v9, v11
	v_mul_f16_sdwa v8, v26, v8 dst_sel:DWORD dst_unused:UNUSED_PAD src0_sel:WORD_1 src1_sel:DWORD
	v_cmp_ne_u32_e32 vcc, v9, v3
	v_fma_f16 v8, v26, v13, -v8
	v_cndmask_b32_e64 v3, 0, 1, vcc
	v_add_u32_e32 v9, 0xfffffc10, v7
	v_cvt_f32_f16_e32 v8, v8
	v_or_b32_e32 v3, v11, v3
	v_lshl_or_b32 v7, v9, 12, v1
	v_cmp_gt_i32_e32 vcc, 1, v9
	v_cndmask_b32_e32 v3, v7, v3, vcc
	v_and_b32_e32 v7, 7, v3
	v_cmp_lt_i32_e32 vcc, 5, v7
	v_cmp_eq_u32_e64 s[0:1], 3, v7
	v_cvt_f64_f32_e32 v[7:8], v8
	v_lshrrev_b32_e32 v3, 2, v3
	s_or_b64 vcc, s[0:1], vcc
	v_addc_co_u32_e32 v3, vcc, 0, v3, vcc
	v_mul_f64 v[7:8], v[7:8], s[2:3]
	v_cmp_gt_i32_e32 vcc, 31, v9
	v_cndmask_b32_e32 v3, v0, v3, vcc
	v_cmp_ne_u32_e32 vcc, 0, v1
	v_cndmask_b32_e64 v1, 0, 1, vcc
	v_lshl_or_b32 v1, v1, 9, v0
	v_cmp_eq_u32_e32 vcc, s10, v9
	v_cndmask_b32_e32 v1, v3, v1, vcc
	v_lshrrev_b32_e32 v3, 16, v10
	v_and_or_b32 v1, v3, s11, v1
	v_and_or_b32 v3, v8, s6, v7
	v_cmp_ne_u32_e32 vcc, 0, v3
	v_cndmask_b32_e64 v3, 0, 1, vcc
	v_lshrrev_b32_e32 v7, 8, v8
	v_bfe_u32 v9, v8, 20, 11
	v_and_or_b32 v3, v7, s7, v3
	v_sub_u32_e32 v10, 0x3f1, v9
	v_or_b32_e32 v7, 0x1000, v3
	v_med3_i32 v10, v10, 0, 13
	v_lshrrev_b32_e32 v11, v10, v7
	v_lshlrev_b32_e32 v10, v10, v11
	v_cmp_ne_u32_e32 vcc, v10, v7
	ds_read_b32 v12, v27 offset:448
	ds_read_b32 v13, v25 offset:704
	v_cndmask_b32_e64 v7, 0, 1, vcc
	v_or_b32_e32 v7, v11, v7
	v_add_u32_e32 v11, 0xfffffc10, v9
	v_lshl_or_b32 v9, v11, 12, v3
	v_cmp_gt_i32_e32 vcc, 1, v11
	v_cndmask_b32_e32 v7, v9, v7, vcc
	v_and_b32_e32 v9, 7, v7
	s_waitcnt lgkmcnt(1)
	v_lshrrev_b32_e32 v14, 16, v12
	v_cmp_lt_i32_e32 vcc, 5, v9
	v_cmp_eq_u32_e64 s[0:1], 3, v9
	v_mul_f16_sdwa v9, v24, v14 dst_sel:DWORD dst_unused:UNUSED_PAD src0_sel:WORD_1 src1_sel:DWORD
	v_fma_f16 v9, v24, v12, v9
	v_cvt_f32_f16_e32 v9, v9
	v_lshrrev_b32_e32 v7, 2, v7
	s_or_b64 vcc, s[0:1], vcc
	v_addc_co_u32_e32 v7, vcc, 0, v7, vcc
	v_cmp_gt_i32_e32 vcc, 31, v11
	v_cndmask_b32_e32 v7, v0, v7, vcc
	v_cmp_ne_u32_e32 vcc, 0, v3
	v_cvt_f64_f32_e32 v[9:10], v9
	v_cndmask_b32_e64 v3, 0, 1, vcc
	v_lshl_or_b32 v3, v3, 9, v0
	v_cmp_eq_u32_e32 vcc, s10, v11
	v_cndmask_b32_e32 v3, v7, v3, vcc
	v_lshrrev_b32_e32 v7, 16, v8
	v_and_or_b32 v3, v7, s11, v3
	v_mul_f64 v[7:8], v[9:10], s[2:3]
	v_and_b32_e32 v1, 0xffff, v1
	v_add_co_u32_e32 v5, vcc, s4, v5
	v_lshl_or_b32 v1, v3, 16, v1
	v_addc_co_u32_e32 v6, vcc, v6, v2, vcc
	global_store_dword v[5:6], v1, off
	v_and_or_b32 v1, v8, s6, v7
	v_cmp_ne_u32_e32 vcc, 0, v1
	v_cndmask_b32_e64 v1, 0, 1, vcc
	v_lshrrev_b32_e32 v3, 8, v8
	v_bfe_u32 v7, v8, 20, 11
	v_and_or_b32 v1, v3, s7, v1
	v_sub_u32_e32 v9, 0x3f1, v7
	v_or_b32_e32 v3, 0x1000, v1
	v_med3_i32 v9, v9, 0, 13
	v_lshrrev_b32_e32 v10, v9, v3
	v_lshlrev_b32_e32 v9, v9, v10
	v_cmp_ne_u32_e32 vcc, v9, v3
	v_cndmask_b32_e64 v3, 0, 1, vcc
	v_or_b32_e32 v3, v10, v3
	v_mul_f16_sdwa v10, v24, v12 dst_sel:DWORD dst_unused:UNUSED_PAD src0_sel:WORD_1 src1_sel:DWORD
	v_fma_f16 v10, v24, v14, -v10
	v_add_u32_e32 v7, 0xfffffc10, v7
	v_cvt_f32_f16_e32 v10, v10
	v_lshl_or_b32 v9, v7, 12, v1
	v_cmp_gt_i32_e32 vcc, 1, v7
	v_cndmask_b32_e32 v3, v9, v3, vcc
	v_and_b32_e32 v9, 7, v3
	v_cmp_lt_i32_e32 vcc, 5, v9
	v_cmp_eq_u32_e64 s[0:1], 3, v9
	v_cvt_f64_f32_e32 v[9:10], v10
	v_lshrrev_b32_e32 v3, 2, v3
	s_or_b64 vcc, s[0:1], vcc
	v_addc_co_u32_e32 v3, vcc, 0, v3, vcc
	v_mul_f64 v[9:10], v[9:10], s[2:3]
	v_cmp_gt_i32_e32 vcc, 31, v7
	v_cndmask_b32_e32 v3, v0, v3, vcc
	v_cmp_ne_u32_e32 vcc, 0, v1
	v_cndmask_b32_e64 v1, 0, 1, vcc
	v_lshl_or_b32 v1, v1, 9, v0
	v_cmp_eq_u32_e32 vcc, s10, v7
	v_cndmask_b32_e32 v1, v3, v1, vcc
	v_lshrrev_b32_e32 v3, 16, v8
	v_and_or_b32 v1, v3, s11, v1
	v_and_or_b32 v3, v10, s6, v9
	v_cmp_ne_u32_e32 vcc, 0, v3
	v_cndmask_b32_e64 v3, 0, 1, vcc
	v_lshrrev_b32_e32 v7, 8, v10
	v_bfe_u32 v8, v10, 20, 11
	v_and_or_b32 v3, v7, s7, v3
	v_sub_u32_e32 v9, 0x3f1, v8
	v_or_b32_e32 v7, 0x1000, v3
	v_med3_i32 v9, v9, 0, 13
	v_lshrrev_b32_e32 v11, v9, v7
	v_lshlrev_b32_e32 v9, v9, v11
	v_cmp_ne_u32_e32 vcc, v9, v7
	v_cndmask_b32_e64 v7, 0, 1, vcc
	v_add_u32_e32 v9, 0xfffffc10, v8
	v_or_b32_e32 v7, v11, v7
	v_lshl_or_b32 v8, v9, 12, v3
	v_cmp_gt_i32_e32 vcc, 1, v9
	v_cndmask_b32_e32 v7, v8, v7, vcc
	v_and_b32_e32 v8, 7, v7
	v_cmp_lt_i32_e32 vcc, 5, v8
	v_cmp_eq_u32_e64 s[0:1], 3, v8
	v_lshrrev_b32_e32 v7, 2, v7
	s_or_b64 vcc, s[0:1], vcc
	v_addc_co_u32_e32 v7, vcc, 0, v7, vcc
	v_cmp_gt_i32_e32 vcc, 31, v9
	v_lshrrev_b32_e32 v12, 16, v4
	v_cndmask_b32_e32 v11, v0, v7, vcc
	v_mul_f16_sdwa v7, v23, v12 dst_sel:DWORD dst_unused:UNUSED_PAD src0_sel:WORD_1 src1_sel:DWORD
	v_fma_f16 v7, v23, v4, v7
	v_cvt_f32_f16_e32 v7, v7
	v_cmp_ne_u32_e32 vcc, 0, v3
	v_cndmask_b32_e64 v3, 0, 1, vcc
	v_lshl_or_b32 v3, v3, 9, v0
	v_cvt_f64_f32_e32 v[7:8], v7
	v_cmp_eq_u32_e32 vcc, s10, v9
	v_cndmask_b32_e32 v3, v11, v3, vcc
	v_lshrrev_b32_e32 v9, 16, v10
	v_mul_f64 v[7:8], v[7:8], s[2:3]
	v_and_or_b32 v3, v9, s11, v3
	v_and_b32_e32 v1, 0xffff, v1
	v_add_co_u32_e32 v5, vcc, s4, v5
	v_lshl_or_b32 v1, v3, 16, v1
	v_addc_co_u32_e32 v6, vcc, v6, v2, vcc
	global_store_dword v[5:6], v1, off
	v_and_or_b32 v1, v8, s6, v7
	v_cmp_ne_u32_e32 vcc, 0, v1
	v_cndmask_b32_e64 v1, 0, 1, vcc
	v_lshrrev_b32_e32 v3, 8, v8
	v_bfe_u32 v7, v8, 20, 11
	v_and_or_b32 v1, v3, s7, v1
	v_sub_u32_e32 v9, 0x3f1, v7
	v_or_b32_e32 v3, 0x1000, v1
	v_med3_i32 v9, v9, 0, 13
	v_lshrrev_b32_e32 v10, v9, v3
	v_lshlrev_b32_e32 v9, v9, v10
	v_mul_f16_sdwa v4, v23, v4 dst_sel:DWORD dst_unused:UNUSED_PAD src0_sel:WORD_1 src1_sel:DWORD
	v_cmp_ne_u32_e32 vcc, v9, v3
	v_fma_f16 v4, v23, v12, -v4
	v_cndmask_b32_e64 v3, 0, 1, vcc
	v_add_u32_e32 v7, 0xfffffc10, v7
	v_cvt_f32_f16_e32 v4, v4
	v_or_b32_e32 v3, v10, v3
	v_lshl_or_b32 v9, v7, 12, v1
	v_cmp_gt_i32_e32 vcc, 1, v7
	v_cndmask_b32_e32 v3, v9, v3, vcc
	v_and_b32_e32 v9, 7, v3
	v_cmp_lt_i32_e32 vcc, 5, v9
	v_cmp_eq_u32_e64 s[0:1], 3, v9
	v_lshrrev_b32_e32 v9, 2, v3
	v_cvt_f64_f32_e32 v[3:4], v4
	s_or_b64 vcc, s[0:1], vcc
	v_addc_co_u32_e32 v9, vcc, 0, v9, vcc
	v_mul_f64 v[3:4], v[3:4], s[2:3]
	v_cmp_gt_i32_e32 vcc, 31, v7
	v_cndmask_b32_e32 v9, v0, v9, vcc
	v_cmp_ne_u32_e32 vcc, 0, v1
	v_cndmask_b32_e64 v1, 0, 1, vcc
	v_lshl_or_b32 v1, v1, 9, v0
	v_cmp_eq_u32_e32 vcc, s10, v7
	v_cndmask_b32_e32 v1, v9, v1, vcc
	v_and_or_b32 v3, v4, s6, v3
	v_lshrrev_b32_e32 v7, 16, v8
	v_cmp_ne_u32_e32 vcc, 0, v3
	v_and_or_b32 v1, v7, s11, v1
	v_cndmask_b32_e64 v3, 0, 1, vcc
	v_lshrrev_b32_e32 v7, 8, v4
	v_bfe_u32 v8, v4, 20, 11
	v_and_or_b32 v3, v7, s7, v3
	v_sub_u32_e32 v9, 0x3f1, v8
	v_or_b32_e32 v7, 0x1000, v3
	v_med3_i32 v9, v9, 0, 13
	v_lshrrev_b32_e32 v10, v9, v7
	v_lshlrev_b32_e32 v9, v9, v10
	v_cmp_ne_u32_e32 vcc, v9, v7
	v_cndmask_b32_e64 v7, 0, 1, vcc
	v_add_u32_e32 v9, 0xfffffc10, v8
	v_or_b32_e32 v7, v10, v7
	v_lshl_or_b32 v8, v9, 12, v3
	v_cmp_gt_i32_e32 vcc, 1, v9
	v_cndmask_b32_e32 v7, v8, v7, vcc
	v_and_b32_e32 v8, 7, v7
	v_cmp_lt_i32_e32 vcc, 5, v8
	v_cmp_eq_u32_e64 s[0:1], 3, v8
	v_lshrrev_b32_e32 v7, 2, v7
	s_or_b64 vcc, s[0:1], vcc
	v_addc_co_u32_e32 v7, vcc, 0, v7, vcc
	v_cmp_gt_i32_e32 vcc, 31, v9
	s_waitcnt lgkmcnt(0)
	v_lshrrev_b32_e32 v11, 16, v13
	v_cndmask_b32_e32 v10, v0, v7, vcc
	v_mul_f16_sdwa v7, v22, v11 dst_sel:DWORD dst_unused:UNUSED_PAD src0_sel:WORD_1 src1_sel:DWORD
	v_fma_f16 v7, v22, v13, v7
	v_cvt_f32_f16_e32 v7, v7
	v_cmp_ne_u32_e32 vcc, 0, v3
	v_cndmask_b32_e64 v3, 0, 1, vcc
	v_lshl_or_b32 v3, v3, 9, v0
	v_cvt_f64_f32_e32 v[7:8], v7
	v_cmp_eq_u32_e32 vcc, s10, v9
	v_cndmask_b32_e32 v3, v10, v3, vcc
	v_lshrrev_b32_e32 v4, 16, v4
	v_and_or_b32 v9, v4, s11, v3
	v_mul_f64 v[3:4], v[7:8], s[2:3]
	v_and_b32_e32 v1, 0xffff, v1
	v_add_co_u32_e32 v5, vcc, s4, v5
	v_lshl_or_b32 v1, v9, 16, v1
	v_addc_co_u32_e32 v6, vcc, v6, v2, vcc
	global_store_dword v[5:6], v1, off
	v_and_or_b32 v1, v4, s6, v3
	v_cmp_ne_u32_e32 vcc, 0, v1
	v_cndmask_b32_e64 v1, 0, 1, vcc
	v_lshrrev_b32_e32 v3, 8, v4
	v_bfe_u32 v7, v4, 20, 11
	v_and_or_b32 v1, v3, s7, v1
	v_sub_u32_e32 v8, 0x3f1, v7
	v_or_b32_e32 v3, 0x1000, v1
	v_med3_i32 v8, v8, 0, 13
	v_lshrrev_b32_e32 v9, v8, v3
	v_lshlrev_b32_e32 v8, v8, v9
	v_cmp_ne_u32_e32 vcc, v8, v3
	v_mul_f16_sdwa v8, v22, v13 dst_sel:DWORD dst_unused:UNUSED_PAD src0_sel:WORD_1 src1_sel:DWORD
	v_cndmask_b32_e64 v3, 0, 1, vcc
	v_fma_f16 v8, v22, v11, -v8
	v_or_b32_e32 v3, v9, v3
	v_add_u32_e32 v9, 0xfffffc10, v7
	v_cvt_f32_f16_e32 v8, v8
	v_lshl_or_b32 v7, v9, 12, v1
	v_cmp_gt_i32_e32 vcc, 1, v9
	v_cndmask_b32_e32 v3, v7, v3, vcc
	v_and_b32_e32 v7, 7, v3
	v_cmp_lt_i32_e32 vcc, 5, v7
	v_cmp_eq_u32_e64 s[0:1], 3, v7
	v_cvt_f64_f32_e32 v[7:8], v8
	v_lshrrev_b32_e32 v3, 2, v3
	s_or_b64 vcc, s[0:1], vcc
	v_addc_co_u32_e32 v3, vcc, 0, v3, vcc
	v_mul_f64 v[7:8], v[7:8], s[2:3]
	v_cmp_gt_i32_e32 vcc, 31, v9
	v_cndmask_b32_e32 v3, v0, v3, vcc
	v_cmp_ne_u32_e32 vcc, 0, v1
	v_cndmask_b32_e64 v1, 0, 1, vcc
	v_lshl_or_b32 v1, v1, 9, v0
	v_cmp_eq_u32_e32 vcc, s10, v9
	v_cndmask_b32_e32 v1, v3, v1, vcc
	v_lshrrev_b32_e32 v3, 16, v4
	v_and_or_b32 v1, v3, s11, v1
	v_and_or_b32 v3, v8, s6, v7
	v_cmp_ne_u32_e32 vcc, 0, v3
	v_cndmask_b32_e64 v3, 0, 1, vcc
	v_lshrrev_b32_e32 v4, 8, v8
	v_bfe_u32 v7, v8, 20, 11
	v_and_or_b32 v3, v4, s7, v3
	v_sub_u32_e32 v9, 0x3f1, v7
	v_or_b32_e32 v4, 0x1000, v3
	v_med3_i32 v9, v9, 0, 13
	v_lshrrev_b32_e32 v10, v9, v4
	v_lshlrev_b32_e32 v9, v9, v10
	v_cmp_ne_u32_e32 vcc, v9, v4
	v_cndmask_b32_e64 v4, 0, 1, vcc
	v_add_u32_e32 v7, 0xfffffc10, v7
	v_or_b32_e32 v4, v10, v4
	v_lshl_or_b32 v9, v7, 12, v3
	v_cmp_gt_i32_e32 vcc, 1, v7
	v_cndmask_b32_e32 v4, v9, v4, vcc
	v_and_b32_e32 v9, 7, v4
	v_cmp_lt_i32_e32 vcc, 5, v9
	v_cmp_eq_u32_e64 s[0:1], 3, v9
	v_lshrrev_b32_e32 v4, 2, v4
	s_or_b64 vcc, s[0:1], vcc
	v_addc_co_u32_e32 v4, vcc, 0, v4, vcc
	v_cmp_gt_i32_e32 vcc, 31, v7
	v_cndmask_b32_e32 v4, v0, v4, vcc
	v_cmp_ne_u32_e32 vcc, 0, v3
	v_cndmask_b32_e64 v3, 0, 1, vcc
	v_lshl_or_b32 v0, v3, 9, v0
	v_cmp_eq_u32_e32 vcc, s10, v7
	v_cndmask_b32_e32 v0, v4, v0, vcc
	v_lshrrev_b32_e32 v3, 16, v8
	v_and_or_b32 v0, v3, s11, v0
	v_and_b32_e32 v1, 0xffff, v1
	v_lshl_or_b32 v3, v0, 16, v1
	v_add_co_u32_e32 v0, vcc, s4, v5
	v_addc_co_u32_e32 v1, vcc, v6, v2, vcc
	global_store_dword v[0:1], v3, off
.LBB0_2:
	s_endpgm
	.section	.rodata,"a",@progbits
	.p2align	6, 0x0
	.amdhsa_kernel bluestein_single_back_len192_dim1_half_op_CI_CI
		.amdhsa_group_segment_fixed_size 6144
		.amdhsa_private_segment_fixed_size 0
		.amdhsa_kernarg_size 104
		.amdhsa_user_sgpr_count 6
		.amdhsa_user_sgpr_private_segment_buffer 1
		.amdhsa_user_sgpr_dispatch_ptr 0
		.amdhsa_user_sgpr_queue_ptr 0
		.amdhsa_user_sgpr_kernarg_segment_ptr 1
		.amdhsa_user_sgpr_dispatch_id 0
		.amdhsa_user_sgpr_flat_scratch_init 0
		.amdhsa_user_sgpr_private_segment_size 0
		.amdhsa_uses_dynamic_stack 0
		.amdhsa_system_sgpr_private_segment_wavefront_offset 0
		.amdhsa_system_sgpr_workgroup_id_x 1
		.amdhsa_system_sgpr_workgroup_id_y 0
		.amdhsa_system_sgpr_workgroup_id_z 0
		.amdhsa_system_sgpr_workgroup_info 0
		.amdhsa_system_vgpr_workitem_id 0
		.amdhsa_next_free_vgpr 64
		.amdhsa_next_free_sgpr 20
		.amdhsa_reserve_vcc 1
		.amdhsa_reserve_flat_scratch 0
		.amdhsa_float_round_mode_32 0
		.amdhsa_float_round_mode_16_64 0
		.amdhsa_float_denorm_mode_32 3
		.amdhsa_float_denorm_mode_16_64 3
		.amdhsa_dx10_clamp 1
		.amdhsa_ieee_mode 1
		.amdhsa_fp16_overflow 0
		.amdhsa_exception_fp_ieee_invalid_op 0
		.amdhsa_exception_fp_denorm_src 0
		.amdhsa_exception_fp_ieee_div_zero 0
		.amdhsa_exception_fp_ieee_overflow 0
		.amdhsa_exception_fp_ieee_underflow 0
		.amdhsa_exception_fp_ieee_inexact 0
		.amdhsa_exception_int_div_zero 0
	.end_amdhsa_kernel
	.text
.Lfunc_end0:
	.size	bluestein_single_back_len192_dim1_half_op_CI_CI, .Lfunc_end0-bluestein_single_back_len192_dim1_half_op_CI_CI
                                        ; -- End function
	.section	.AMDGPU.csdata,"",@progbits
; Kernel info:
; codeLenInByte = 14548
; NumSgprs: 24
; NumVgprs: 64
; ScratchSize: 0
; MemoryBound: 0
; FloatMode: 240
; IeeeMode: 1
; LDSByteSize: 6144 bytes/workgroup (compile time only)
; SGPRBlocks: 2
; VGPRBlocks: 15
; NumSGPRsForWavesPerEU: 24
; NumVGPRsForWavesPerEU: 64
; Occupancy: 4
; WaveLimiterHint : 1
; COMPUTE_PGM_RSRC2:SCRATCH_EN: 0
; COMPUTE_PGM_RSRC2:USER_SGPR: 6
; COMPUTE_PGM_RSRC2:TRAP_HANDLER: 0
; COMPUTE_PGM_RSRC2:TGID_X_EN: 1
; COMPUTE_PGM_RSRC2:TGID_Y_EN: 0
; COMPUTE_PGM_RSRC2:TGID_Z_EN: 0
; COMPUTE_PGM_RSRC2:TIDIG_COMP_CNT: 0
	.type	__hip_cuid_820537f05ed7f61a,@object ; @__hip_cuid_820537f05ed7f61a
	.section	.bss,"aw",@nobits
	.globl	__hip_cuid_820537f05ed7f61a
__hip_cuid_820537f05ed7f61a:
	.byte	0                               ; 0x0
	.size	__hip_cuid_820537f05ed7f61a, 1

	.ident	"AMD clang version 19.0.0git (https://github.com/RadeonOpenCompute/llvm-project roc-6.4.0 25133 c7fe45cf4b819c5991fe208aaa96edf142730f1d)"
	.section	".note.GNU-stack","",@progbits
	.addrsig
	.addrsig_sym __hip_cuid_820537f05ed7f61a
	.amdgpu_metadata
---
amdhsa.kernels:
  - .args:
      - .actual_access:  read_only
        .address_space:  global
        .offset:         0
        .size:           8
        .value_kind:     global_buffer
      - .actual_access:  read_only
        .address_space:  global
        .offset:         8
        .size:           8
        .value_kind:     global_buffer
      - .actual_access:  read_only
        .address_space:  global
        .offset:         16
        .size:           8
        .value_kind:     global_buffer
      - .actual_access:  read_only
        .address_space:  global
        .offset:         24
        .size:           8
        .value_kind:     global_buffer
      - .actual_access:  read_only
        .address_space:  global
        .offset:         32
        .size:           8
        .value_kind:     global_buffer
      - .offset:         40
        .size:           8
        .value_kind:     by_value
      - .address_space:  global
        .offset:         48
        .size:           8
        .value_kind:     global_buffer
      - .address_space:  global
        .offset:         56
        .size:           8
        .value_kind:     global_buffer
      - .address_space:  global
        .offset:         64
        .size:           8
        .value_kind:     global_buffer
      - .address_space:  global
        .offset:         72
        .size:           8
        .value_kind:     global_buffer
      - .offset:         80
        .size:           4
        .value_kind:     by_value
      - .address_space:  global
        .offset:         88
        .size:           8
        .value_kind:     global_buffer
      - .address_space:  global
        .offset:         96
        .size:           8
        .value_kind:     global_buffer
    .group_segment_fixed_size: 6144
    .kernarg_segment_align: 8
    .kernarg_segment_size: 104
    .language:       OpenCL C
    .language_version:
      - 2
      - 0
    .max_flat_workgroup_size: 128
    .name:           bluestein_single_back_len192_dim1_half_op_CI_CI
    .private_segment_fixed_size: 0
    .sgpr_count:     24
    .sgpr_spill_count: 0
    .symbol:         bluestein_single_back_len192_dim1_half_op_CI_CI.kd
    .uniform_work_group_size: 1
    .uses_dynamic_stack: false
    .vgpr_count:     64
    .vgpr_spill_count: 0
    .wavefront_size: 64
amdhsa.target:   amdgcn-amd-amdhsa--gfx906
amdhsa.version:
  - 1
  - 2
...

	.end_amdgpu_metadata
